;; amdgpu-corpus repo=ROCm/rocFFT kind=compiled arch=gfx906 opt=O3
	.text
	.amdgcn_target "amdgcn-amd-amdhsa--gfx906"
	.amdhsa_code_object_version 6
	.protected	fft_rtc_fwd_len2560_factors_4_4_4_10_4_wgs_128_tpt_128_halfLds_half_ip_CI_unitstride_sbrr_dirReg ; -- Begin function fft_rtc_fwd_len2560_factors_4_4_4_10_4_wgs_128_tpt_128_halfLds_half_ip_CI_unitstride_sbrr_dirReg
	.globl	fft_rtc_fwd_len2560_factors_4_4_4_10_4_wgs_128_tpt_128_halfLds_half_ip_CI_unitstride_sbrr_dirReg
	.p2align	8
	.type	fft_rtc_fwd_len2560_factors_4_4_4_10_4_wgs_128_tpt_128_halfLds_half_ip_CI_unitstride_sbrr_dirReg,@function
fft_rtc_fwd_len2560_factors_4_4_4_10_4_wgs_128_tpt_128_halfLds_half_ip_CI_unitstride_sbrr_dirReg: ; @fft_rtc_fwd_len2560_factors_4_4_4_10_4_wgs_128_tpt_128_halfLds_half_ip_CI_unitstride_sbrr_dirReg
; %bb.0:
	s_load_dwordx4 s[8:11], s[4:5], 0x0
	s_load_dwordx2 s[2:3], s[4:5], 0x50
	s_load_dwordx2 s[12:13], s[4:5], 0x18
	v_mov_b32_e32 v3, 0
	v_mov_b32_e32 v1, 0
	s_waitcnt lgkmcnt(0)
	v_cmp_lt_u64_e64 s[0:1], s[10:11], 2
	v_mov_b32_e32 v5, s6
	v_mov_b32_e32 v6, v3
	s_and_b64 vcc, exec, s[0:1]
	v_mov_b32_e32 v2, 0
	s_cbranch_vccnz .LBB0_8
; %bb.1:
	s_load_dwordx2 s[0:1], s[4:5], 0x10
	s_add_u32 s6, s12, 8
	s_addc_u32 s7, s13, 0
	v_mov_b32_e32 v1, 0
	v_mov_b32_e32 v2, 0
	s_waitcnt lgkmcnt(0)
	s_add_u32 s14, s0, 8
	s_addc_u32 s15, s1, 0
	s_mov_b64 s[16:17], 1
.LBB0_2:                                ; =>This Inner Loop Header: Depth=1
	s_load_dwordx2 s[18:19], s[14:15], 0x0
                                        ; implicit-def: $vgpr7_vgpr8
	s_waitcnt lgkmcnt(0)
	v_or_b32_e32 v4, s19, v6
	v_cmp_ne_u64_e32 vcc, 0, v[3:4]
	s_and_saveexec_b64 s[0:1], vcc
	s_xor_b64 s[20:21], exec, s[0:1]
	s_cbranch_execz .LBB0_4
; %bb.3:                                ;   in Loop: Header=BB0_2 Depth=1
	v_cvt_f32_u32_e32 v4, s18
	v_cvt_f32_u32_e32 v7, s19
	s_sub_u32 s0, 0, s18
	s_subb_u32 s1, 0, s19
	v_mac_f32_e32 v4, 0x4f800000, v7
	v_rcp_f32_e32 v4, v4
	v_mul_f32_e32 v4, 0x5f7ffffc, v4
	v_mul_f32_e32 v7, 0x2f800000, v4
	v_trunc_f32_e32 v7, v7
	v_mac_f32_e32 v4, 0xcf800000, v7
	v_cvt_u32_f32_e32 v7, v7
	v_cvt_u32_f32_e32 v4, v4
	v_mul_lo_u32 v8, s0, v7
	v_mul_hi_u32 v9, s0, v4
	v_mul_lo_u32 v11, s1, v4
	v_mul_lo_u32 v10, s0, v4
	v_add_u32_e32 v8, v9, v8
	v_add_u32_e32 v8, v8, v11
	v_mul_hi_u32 v9, v4, v10
	v_mul_lo_u32 v11, v4, v8
	v_mul_hi_u32 v13, v4, v8
	v_mul_hi_u32 v12, v7, v10
	v_mul_lo_u32 v10, v7, v10
	v_mul_hi_u32 v14, v7, v8
	v_add_co_u32_e32 v9, vcc, v9, v11
	v_addc_co_u32_e32 v11, vcc, 0, v13, vcc
	v_mul_lo_u32 v8, v7, v8
	v_add_co_u32_e32 v9, vcc, v9, v10
	v_addc_co_u32_e32 v9, vcc, v11, v12, vcc
	v_addc_co_u32_e32 v10, vcc, 0, v14, vcc
	v_add_co_u32_e32 v8, vcc, v9, v8
	v_addc_co_u32_e32 v9, vcc, 0, v10, vcc
	v_add_co_u32_e32 v4, vcc, v4, v8
	v_addc_co_u32_e32 v7, vcc, v7, v9, vcc
	v_mul_lo_u32 v8, s0, v7
	v_mul_hi_u32 v9, s0, v4
	v_mul_lo_u32 v10, s1, v4
	v_mul_lo_u32 v11, s0, v4
	v_add_u32_e32 v8, v9, v8
	v_add_u32_e32 v8, v8, v10
	v_mul_lo_u32 v12, v4, v8
	v_mul_hi_u32 v13, v4, v11
	v_mul_hi_u32 v14, v4, v8
	;; [unrolled: 1-line block ×3, first 2 shown]
	v_mul_lo_u32 v11, v7, v11
	v_mul_hi_u32 v9, v7, v8
	v_add_co_u32_e32 v12, vcc, v13, v12
	v_addc_co_u32_e32 v13, vcc, 0, v14, vcc
	v_mul_lo_u32 v8, v7, v8
	v_add_co_u32_e32 v11, vcc, v12, v11
	v_addc_co_u32_e32 v10, vcc, v13, v10, vcc
	v_addc_co_u32_e32 v9, vcc, 0, v9, vcc
	v_add_co_u32_e32 v8, vcc, v10, v8
	v_addc_co_u32_e32 v9, vcc, 0, v9, vcc
	v_add_co_u32_e32 v4, vcc, v4, v8
	v_addc_co_u32_e32 v9, vcc, v7, v9, vcc
	v_mad_u64_u32 v[7:8], s[0:1], v5, v9, 0
	v_mul_hi_u32 v10, v5, v4
	v_add_co_u32_e32 v11, vcc, v10, v7
	v_addc_co_u32_e32 v12, vcc, 0, v8, vcc
	v_mad_u64_u32 v[7:8], s[0:1], v6, v4, 0
	v_mad_u64_u32 v[9:10], s[0:1], v6, v9, 0
	v_add_co_u32_e32 v4, vcc, v11, v7
	v_addc_co_u32_e32 v4, vcc, v12, v8, vcc
	v_addc_co_u32_e32 v7, vcc, 0, v10, vcc
	v_add_co_u32_e32 v4, vcc, v4, v9
	v_addc_co_u32_e32 v9, vcc, 0, v7, vcc
	v_mul_lo_u32 v10, s19, v4
	v_mul_lo_u32 v11, s18, v9
	v_mad_u64_u32 v[7:8], s[0:1], s18, v4, 0
	v_add3_u32 v8, v8, v11, v10
	v_sub_u32_e32 v10, v6, v8
	v_mov_b32_e32 v11, s19
	v_sub_co_u32_e32 v7, vcc, v5, v7
	v_subb_co_u32_e64 v10, s[0:1], v10, v11, vcc
	v_subrev_co_u32_e64 v11, s[0:1], s18, v7
	v_subbrev_co_u32_e64 v10, s[0:1], 0, v10, s[0:1]
	v_cmp_le_u32_e64 s[0:1], s19, v10
	v_cndmask_b32_e64 v12, 0, -1, s[0:1]
	v_cmp_le_u32_e64 s[0:1], s18, v11
	v_cndmask_b32_e64 v11, 0, -1, s[0:1]
	v_cmp_eq_u32_e64 s[0:1], s19, v10
	v_cndmask_b32_e64 v10, v12, v11, s[0:1]
	v_add_co_u32_e64 v11, s[0:1], 2, v4
	v_addc_co_u32_e64 v12, s[0:1], 0, v9, s[0:1]
	v_add_co_u32_e64 v13, s[0:1], 1, v4
	v_addc_co_u32_e64 v14, s[0:1], 0, v9, s[0:1]
	v_subb_co_u32_e32 v8, vcc, v6, v8, vcc
	v_cmp_ne_u32_e64 s[0:1], 0, v10
	v_cmp_le_u32_e32 vcc, s19, v8
	v_cndmask_b32_e64 v10, v14, v12, s[0:1]
	v_cndmask_b32_e64 v12, 0, -1, vcc
	v_cmp_le_u32_e32 vcc, s18, v7
	v_cndmask_b32_e64 v7, 0, -1, vcc
	v_cmp_eq_u32_e32 vcc, s19, v8
	v_cndmask_b32_e32 v7, v12, v7, vcc
	v_cmp_ne_u32_e32 vcc, 0, v7
	v_cndmask_b32_e64 v7, v13, v11, s[0:1]
	v_cndmask_b32_e32 v8, v9, v10, vcc
	v_cndmask_b32_e32 v7, v4, v7, vcc
.LBB0_4:                                ;   in Loop: Header=BB0_2 Depth=1
	s_andn2_saveexec_b64 s[0:1], s[20:21]
	s_cbranch_execz .LBB0_6
; %bb.5:                                ;   in Loop: Header=BB0_2 Depth=1
	v_cvt_f32_u32_e32 v4, s18
	s_sub_i32 s20, 0, s18
	v_rcp_iflag_f32_e32 v4, v4
	v_mul_f32_e32 v4, 0x4f7ffffe, v4
	v_cvt_u32_f32_e32 v4, v4
	v_mul_lo_u32 v7, s20, v4
	v_mul_hi_u32 v7, v4, v7
	v_add_u32_e32 v4, v4, v7
	v_mul_hi_u32 v4, v5, v4
	v_mul_lo_u32 v7, v4, s18
	v_add_u32_e32 v8, 1, v4
	v_sub_u32_e32 v7, v5, v7
	v_subrev_u32_e32 v9, s18, v7
	v_cmp_le_u32_e32 vcc, s18, v7
	v_cndmask_b32_e32 v7, v7, v9, vcc
	v_cndmask_b32_e32 v4, v4, v8, vcc
	v_add_u32_e32 v8, 1, v4
	v_cmp_le_u32_e32 vcc, s18, v7
	v_cndmask_b32_e32 v7, v4, v8, vcc
	v_mov_b32_e32 v8, v3
.LBB0_6:                                ;   in Loop: Header=BB0_2 Depth=1
	s_or_b64 exec, exec, s[0:1]
	v_mul_lo_u32 v4, v8, s18
	v_mul_lo_u32 v11, v7, s19
	v_mad_u64_u32 v[9:10], s[0:1], v7, s18, 0
	s_load_dwordx2 s[0:1], s[6:7], 0x0
	s_add_u32 s16, s16, 1
	v_add3_u32 v4, v10, v11, v4
	v_sub_co_u32_e32 v5, vcc, v5, v9
	v_subb_co_u32_e32 v4, vcc, v6, v4, vcc
	s_waitcnt lgkmcnt(0)
	v_mul_lo_u32 v4, s0, v4
	v_mul_lo_u32 v6, s1, v5
	v_mad_u64_u32 v[1:2], s[0:1], s0, v5, v[1:2]
	s_addc_u32 s17, s17, 0
	s_add_u32 s6, s6, 8
	v_add3_u32 v2, v6, v2, v4
	v_mov_b32_e32 v4, s10
	v_mov_b32_e32 v5, s11
	s_addc_u32 s7, s7, 0
	v_cmp_ge_u64_e32 vcc, s[16:17], v[4:5]
	s_add_u32 s14, s14, 8
	s_addc_u32 s15, s15, 0
	s_cbranch_vccnz .LBB0_9
; %bb.7:                                ;   in Loop: Header=BB0_2 Depth=1
	v_mov_b32_e32 v5, v7
	v_mov_b32_e32 v6, v8
	s_branch .LBB0_2
.LBB0_8:
	v_mov_b32_e32 v8, v6
	v_mov_b32_e32 v7, v5
.LBB0_9:
	s_lshl_b64 s[0:1], s[10:11], 3
	s_add_u32 s0, s12, s0
	s_addc_u32 s1, s13, s1
	s_load_dwordx2 s[6:7], s[0:1], 0x0
	s_load_dwordx2 s[10:11], s[4:5], 0x20
                                        ; implicit-def: $vgpr12
                                        ; implicit-def: $vgpr13
                                        ; implicit-def: $vgpr15
                                        ; implicit-def: $vgpr16
	s_waitcnt lgkmcnt(0)
	v_mul_lo_u32 v3, s6, v8
	v_mul_lo_u32 v4, s7, v7
	v_mad_u64_u32 v[1:2], s[0:1], s6, v7, v[1:2]
	v_cmp_gt_u64_e32 vcc, s[10:11], v[7:8]
	v_cmp_le_u64_e64 s[0:1], s[10:11], v[7:8]
	v_add3_u32 v2, v4, v2, v3
                                        ; implicit-def: $sgpr6
	s_and_saveexec_b64 s[4:5], s[0:1]
	s_xor_b64 s[0:1], exec, s[4:5]
; %bb.10:
	v_or_b32_e32 v12, 0x80, v0
	v_or_b32_e32 v13, 0x100, v0
	;; [unrolled: 1-line block ×4, first 2 shown]
	s_mov_b32 s6, 0
; %bb.11:
	s_or_saveexec_b64 s[4:5], s[0:1]
	v_lshlrev_b64 v[9:10], 2, v[1:2]
	v_mov_b32_e32 v4, s6
	v_lshlrev_b32_e32 v11, 2, v0
	v_mov_b32_e32 v37, s6
	v_mov_b32_e32 v3, s6
	v_mov_b32_e32 v34, s6
	v_mov_b32_e32 v2, s6
	v_mov_b32_e32 v23, s6
	v_mov_b32_e32 v1, s6
	v_mov_b32_e32 v20, s6
	v_mov_b32_e32 v6, s6
	v_mov_b32_e32 v29, s6
                                        ; implicit-def: $vgpr21
                                        ; implicit-def: $vgpr27
                                        ; implicit-def: $vgpr36
                                        ; implicit-def: $vgpr35
                                        ; implicit-def: $vgpr25
                                        ; implicit-def: $vgpr14
                                        ; implicit-def: $vgpr33
                                        ; implicit-def: $vgpr22
                                        ; implicit-def: $vgpr8
                                        ; implicit-def: $vgpr18
                                        ; implicit-def: $vgpr32
                                        ; implicit-def: $vgpr19
                                        ; implicit-def: $vgpr7
                                        ; implicit-def: $vgpr17
                                        ; implicit-def: $vgpr31
                                        ; implicit-def: $vgpr28
                                        ; implicit-def: $vgpr5
                                        ; implicit-def: $vgpr24
                                        ; implicit-def: $vgpr30
                                        ; implicit-def: $vgpr26
	s_xor_b64 exec, exec, s[4:5]
	s_cbranch_execz .LBB0_13
; %bb.12:
	v_mov_b32_e32 v1, s3
	v_add_co_u32_e64 v21, s[0:1], s2, v9
	v_addc_co_u32_e64 v26, s[0:1], v1, v10, s[0:1]
	v_add_co_u32_e64 v7, s[0:1], v21, v11
	v_addc_co_u32_e64 v8, s[0:1], 0, v26, s[0:1]
	v_or_b32_e32 v1, 0x1400, v11
	v_add_co_u32_e64 v1, s[0:1], v21, v1
	v_addc_co_u32_e64 v2, s[0:1], 0, v26, s[0:1]
	v_or_b32_e32 v3, 0x1e00, v11
	v_add_co_u32_e64 v5, s[0:1], v21, v3
	v_addc_co_u32_e64 v6, s[0:1], 0, v26, s[0:1]
	global_load_dword v27, v[1:2], off
	v_or_b32_e32 v1, 0x1600, v11
	v_add_co_u32_e64 v12, s[0:1], v21, v1
	v_addc_co_u32_e64 v13, s[0:1], 0, v26, s[0:1]
	v_or_b32_e32 v1, 0x2000, v11
	v_add_co_u32_e64 v15, s[0:1], v21, v1
	v_addc_co_u32_e64 v16, s[0:1], 0, v26, s[0:1]
	;; [unrolled: 3-line block ×6, first 2 shown]
	v_or_b32_e32 v14, 0x1a00, v11
	v_add_co_u32_e64 v36, s[0:1], v21, v14
	global_load_dword v4, v[7:8], off
	global_load_dword v3, v[7:8], off offset:512
	global_load_dword v2, v[7:8], off offset:1024
	global_load_dword v1, v[7:8], off offset:1536
	v_addc_co_u32_e64 v37, s[0:1], 0, v26, s[0:1]
	global_load_dword v35, v[5:6], off
	global_load_dword v14, v[12:13], off
	;; [unrolled: 1-line block ×8, first 2 shown]
	v_or_b32_e32 v5, 0x2400, v11
	v_add_co_u32_e64 v12, s[0:1], v21, v5
	v_addc_co_u32_e64 v13, s[0:1], 0, v26, s[0:1]
	v_or_b32_e32 v5, 0x1200, v11
	v_add_co_u32_e64 v15, s[0:1], v21, v5
	v_addc_co_u32_e64 v16, s[0:1], 0, v26, s[0:1]
	;; [unrolled: 3-line block ×4, first 2 shown]
	global_load_dword v28, v[12:13], off
	global_load_dword v29, v[15:16], off
	;; [unrolled: 1-line block ×4, first 2 shown]
	global_load_dword v34, v[7:8], off offset:3072
	global_load_dword v37, v[7:8], off offset:2560
	;; [unrolled: 1-line block ×3, first 2 shown]
	v_or_b32_e32 v12, 0x80, v0
	v_or_b32_e32 v13, 0x100, v0
	v_or_b32_e32 v15, 0x180, v0
	v_or_b32_e32 v16, 0x200, v0
	s_waitcnt vmcnt(19)
	v_lshrrev_b32_e32 v21, 16, v27
	s_waitcnt vmcnt(14)
	v_lshrrev_b32_e32 v36, 16, v35
	;; [unrolled: 2-line block ×10, first 2 shown]
.LBB0_13:
	s_or_b64 exec, exec, s[4:5]
	v_sub_f16_e32 v27, v4, v27
	s_waitcnt vmcnt(1)
	v_sub_f16_e32 v35, v37, v35
	v_lshrrev_b32_e32 v38, 16, v37
	v_sub_f16_e32 v36, v38, v36
	v_fma_f16 v37, v37, 2.0, -v35
	v_fma_f16 v39, v4, 2.0, -v27
	v_sub_f16_e32 v37, v39, v37
	v_sub_f16_e32 v40, v27, v36
	v_fma_f16 v39, v39, 2.0, -v37
	v_fma_f16 v27, v27, 2.0, -v40
	v_pack_b32_f16 v37, v37, v40
	v_pack_b32_f16 v27, v39, v27
	v_lshl_add_u32 v39, v0, 3, 0
	ds_write2_b32 v39, v27, v37 offset1:1
	v_sub_f16_e32 v14, v3, v14
	v_sub_f16_e32 v27, v34, v22
	v_lshrrev_b32_e32 v37, 16, v34
	v_sub_f16_e32 v33, v37, v33
	v_fma_f16 v22, v34, 2.0, -v27
	v_fma_f16 v34, v3, 2.0, -v14
	v_sub_f16_e32 v22, v34, v22
	v_sub_f16_e32 v40, v14, v33
	v_fma_f16 v34, v34, 2.0, -v22
	v_fma_f16 v14, v14, 2.0, -v40
	v_pack_b32_f16 v22, v22, v40
	v_pack_b32_f16 v34, v34, v14
	v_lshl_add_u32 v14, v12, 3, 0
	ds_write2_b32 v14, v34, v22 offset1:1
	v_sub_f16_e32 v18, v2, v18
	v_sub_f16_e32 v34, v23, v19
	v_lshrrev_b32_e32 v40, 16, v23
	v_sub_f16_e32 v32, v40, v32
	v_fma_f16 v19, v23, 2.0, -v34
	v_fma_f16 v22, v2, 2.0, -v18
	v_sub_f16_e32 v19, v22, v19
	v_sub_f16_e32 v23, v18, v32
	v_fma_f16 v22, v22, 2.0, -v19
	v_fma_f16 v18, v18, 2.0, -v23
	v_pack_b32_f16 v19, v19, v23
	v_pack_b32_f16 v22, v22, v18
	v_lshl_add_u32 v18, v13, 3, 0
	v_sub_f16_e32 v17, v1, v17
	v_sub_f16_e32 v28, v20, v28
	v_lshrrev_b32_e32 v41, 16, v20
	ds_write2_b32 v18, v22, v19 offset1:1
	v_sub_f16_e32 v31, v41, v31
	v_fma_f16 v19, v20, 2.0, -v28
	v_fma_f16 v20, v1, 2.0, -v17
	v_sub_f16_e32 v19, v20, v19
	v_sub_f16_e32 v22, v17, v31
	v_fma_f16 v20, v20, 2.0, -v19
	v_fma_f16 v17, v17, 2.0, -v22
	v_pack_b32_f16 v22, v19, v22
	v_pack_b32_f16 v17, v20, v17
	v_lshl_add_u32 v19, v15, 3, 0
	ds_write2_b32 v19, v17, v22 offset1:1
	s_waitcnt vmcnt(0)
	v_sub_f16_e32 v17, v6, v24
	v_sub_f16_e32 v26, v29, v26
	v_lshrrev_b32_e32 v42, 16, v29
	v_sub_f16_e32 v30, v42, v30
	v_fma_f16 v20, v29, 2.0, -v26
	v_fma_f16 v22, v6, 2.0, -v17
	v_sub_f16_e32 v20, v22, v20
	v_sub_f16_e32 v23, v17, v30
	v_fma_f16 v22, v22, 2.0, -v20
	v_fma_f16 v17, v17, 2.0, -v23
	v_pack_b32_f16 v23, v20, v23
	v_pack_b32_f16 v17, v22, v17
	v_lshl_add_u32 v20, v16, 3, 0
	v_lshrrev_b32_e32 v4, 16, v4
	ds_write2_b32 v20, v17, v23 offset1:1
	v_sub_f16_e32 v17, v4, v21
	v_fma_f16 v4, v4, 2.0, -v17
	v_fma_f16 v21, v38, 2.0, -v36
	v_sub_f16_e32 v21, v4, v21
	v_add_f16_e32 v22, v17, v35
	v_fma_f16 v4, v4, 2.0, -v21
	v_fma_f16 v24, v17, 2.0, -v22
	v_lshrrev_b32_e32 v3, 16, v3
	v_mad_i32_i24 v17, v0, -6, v39
	v_pack_b32_f16 v29, v21, v22
	v_mad_i32_i24 v23, v12, -6, v14
	v_pack_b32_f16 v4, v4, v24
	v_sub_f16_e32 v25, v3, v25
	s_waitcnt lgkmcnt(0)
	s_barrier
	v_mad_i32_i24 v22, v13, -6, v18
	v_mad_i32_i24 v21, v15, -6, v19
	ds_read_u16 v35, v17
	ds_read_u16 v36, v17 offset:1280
	ds_read_u16 v38, v17 offset:1536
	;; [unrolled: 1-line block ×6, first 2 shown]
	v_mad_i32_i24 v24, v16, -6, v20
	ds_read_u16 v47, v23
	ds_read_u16 v48, v22
	;; [unrolled: 1-line block ×4, first 2 shown]
	ds_read_u16 v51, v17 offset:2816
	ds_read_u16 v52, v17 offset:2560
	;; [unrolled: 1-line block ×9, first 2 shown]
	s_waitcnt lgkmcnt(0)
	s_barrier
	ds_write2_b32 v39, v4, v29 offset1:1
	v_fma_f16 v4, v37, 2.0, -v33
	v_fma_f16 v3, v3, 2.0, -v25
	v_sub_f16_e32 v4, v3, v4
	v_add_f16_e32 v27, v25, v27
	v_fma_f16 v3, v3, 2.0, -v4
	v_fma_f16 v25, v25, 2.0, -v27
	v_pack_b32_f16 v4, v4, v27
	v_pack_b32_f16 v3, v3, v25
	v_lshrrev_b32_e32 v2, 16, v2
	ds_write2_b32 v14, v3, v4 offset1:1
	v_sub_f16_e32 v4, v2, v8
	v_fma_f16 v3, v40, 2.0, -v32
	v_fma_f16 v2, v2, 2.0, -v4
	v_sub_f16_e32 v3, v2, v3
	v_add_f16_e32 v8, v4, v34
	v_fma_f16 v2, v2, 2.0, -v3
	v_fma_f16 v4, v4, 2.0, -v8
	v_pack_b32_f16 v3, v3, v8
	v_pack_b32_f16 v2, v2, v4
	v_lshrrev_b32_e32 v1, 16, v1
	ds_write2_b32 v18, v2, v3 offset1:1
	v_sub_f16_e32 v3, v1, v7
	v_fma_f16 v2, v41, 2.0, -v31
	v_fma_f16 v1, v1, 2.0, -v3
	v_sub_f16_e32 v2, v1, v2
	v_add_f16_e32 v4, v3, v28
	v_fma_f16 v1, v1, 2.0, -v2
	v_fma_f16 v3, v3, 2.0, -v4
	v_pack_b32_f16 v2, v2, v4
	v_pack_b32_f16 v1, v1, v3
	ds_write2_b32 v19, v1, v2 offset1:1
	v_lshrrev_b32_e32 v2, 16, v6
	v_sub_f16_e32 v3, v2, v5
	v_fma_f16 v1, v42, 2.0, -v30
	v_fma_f16 v2, v2, 2.0, -v3
	v_sub_f16_e32 v1, v2, v1
	v_add_f16_e32 v4, v3, v26
	v_fma_f16 v2, v2, 2.0, -v1
	v_fma_f16 v3, v3, 2.0, -v4
	v_pack_b32_f16 v1, v1, v4
	v_pack_b32_f16 v2, v2, v3
	v_and_b32_e32 v4, 3, v0
	ds_write2_b32 v20, v2, v1 offset1:1
	v_mul_u32_u24_e32 v1, 3, v4
	v_lshlrev_b32_e32 v1, 2, v1
	s_waitcnt lgkmcnt(0)
	s_barrier
	global_load_dwordx3 v[1:3], v1, s[8:9]
	ds_read_u16 v5, v17 offset:1280
	ds_read_u16 v6, v17 offset:1536
	;; [unrolled: 1-line block ×7, first 2 shown]
	ds_read_u16 v28, v17
	s_movk_i32 s0, 0x1f0
	s_movk_i32 s6, 0x3b9c
	s_mov_b32 s1, 0xbb9c
	s_movk_i32 s5, 0x38b4
	s_mov_b32 s4, 0xb8b4
	s_movk_i32 s7, 0x3a79
	s_movk_i32 s10, 0x280
	s_waitcnt vmcnt(0) lgkmcnt(7)
	v_mul_f16_sdwa v29, v5, v1 dst_sel:DWORD dst_unused:UNUSED_PAD src0_sel:DWORD src1_sel:WORD_1
	v_mul_f16_sdwa v30, v36, v1 dst_sel:DWORD dst_unused:UNUSED_PAD src0_sel:DWORD src1_sel:WORD_1
	;; [unrolled: 1-line block ×3, first 2 shown]
	v_fma_f16 v29, v36, v1, -v29
	v_fma_f16 v5, v5, v1, v30
	s_waitcnt lgkmcnt(1)
	v_mul_f16_sdwa v30, v27, v2 dst_sel:DWORD dst_unused:UNUSED_PAD src0_sel:DWORD src1_sel:WORD_1
	v_fma_f16 v27, v27, v2, v31
	ds_read_u16 v31, v17 offset:3072
	ds_read_u16 v32, v17 offset:3328
	;; [unrolled: 1-line block ×8, first 2 shown]
	v_mul_f16_sdwa v42, v58, v3 dst_sel:DWORD dst_unused:UNUSED_PAD src0_sel:DWORD src1_sel:WORD_1
	s_waitcnt lgkmcnt(5)
	v_mul_f16_sdwa v41, v33, v3 dst_sel:DWORD dst_unused:UNUSED_PAD src0_sel:DWORD src1_sel:WORD_1
	v_fma_f16 v33, v33, v3, v42
	v_mul_f16_sdwa v42, v6, v1 dst_sel:DWORD dst_unused:UNUSED_PAD src0_sel:DWORD src1_sel:WORD_1
	v_fma_f16 v42, v38, v1, -v42
	v_mul_f16_sdwa v38, v38, v1 dst_sel:DWORD dst_unused:UNUSED_PAD src0_sel:DWORD src1_sel:WORD_1
	v_fma_f16 v6, v6, v1, v38
	v_mul_f16_sdwa v38, v26, v2 dst_sel:DWORD dst_unused:UNUSED_PAD src0_sel:DWORD src1_sel:WORD_1
	v_fma_f16 v30, v52, v2, -v30
	v_fma_f16 v38, v51, v2, -v38
	v_mul_f16_sdwa v51, v51, v2 dst_sel:DWORD dst_unused:UNUSED_PAD src0_sel:DWORD src1_sel:WORD_1
	v_mul_f16_sdwa v52, v57, v3 dst_sel:DWORD dst_unused:UNUSED_PAD src0_sel:DWORD src1_sel:WORD_1
	v_fma_f16 v26, v26, v2, v51
	s_waitcnt lgkmcnt(4)
	v_mul_f16_sdwa v51, v34, v3 dst_sel:DWORD dst_unused:UNUSED_PAD src0_sel:DWORD src1_sel:WORD_1
	v_fma_f16 v34, v34, v3, v52
	v_mul_f16_sdwa v52, v7, v1 dst_sel:DWORD dst_unused:UNUSED_PAD src0_sel:DWORD src1_sel:WORD_1
	v_fma_f16 v52, v43, v1, -v52
	v_mul_f16_sdwa v43, v43, v1 dst_sel:DWORD dst_unused:UNUSED_PAD src0_sel:DWORD src1_sel:WORD_1
	v_fma_f16 v7, v7, v1, v43
	v_mul_f16_sdwa v43, v31, v2 dst_sel:DWORD dst_unused:UNUSED_PAD src0_sel:DWORD src1_sel:WORD_1
	v_fma_f16 v43, v45, v2, -v43
	v_mul_f16_sdwa v45, v45, v2 dst_sel:DWORD dst_unused:UNUSED_PAD src0_sel:DWORD src1_sel:WORD_1
	v_fma_f16 v31, v31, v2, v45
	s_waitcnt lgkmcnt(3)
	v_mul_f16_sdwa v45, v36, v3 dst_sel:DWORD dst_unused:UNUSED_PAD src0_sel:DWORD src1_sel:WORD_1
	v_fma_f16 v45, v54, v3, -v45
	v_mul_f16_sdwa v54, v54, v3 dst_sel:DWORD dst_unused:UNUSED_PAD src0_sel:DWORD src1_sel:WORD_1
	v_fma_f16 v36, v36, v3, v54
	v_mul_f16_sdwa v54, v8, v1 dst_sel:DWORD dst_unused:UNUSED_PAD src0_sel:DWORD src1_sel:WORD_1
	v_fma_f16 v54, v44, v1, -v54
	v_mul_f16_sdwa v44, v44, v1 dst_sel:DWORD dst_unused:UNUSED_PAD src0_sel:DWORD src1_sel:WORD_1
	v_fma_f16 v8, v8, v1, v44
	;; [unrolled: 4-line block ×3, first 2 shown]
	s_waitcnt lgkmcnt(2)
	v_mul_f16_sdwa v46, v37, v3 dst_sel:DWORD dst_unused:UNUSED_PAD src0_sel:DWORD src1_sel:WORD_1
	v_fma_f16 v46, v55, v3, -v46
	v_mul_f16_sdwa v55, v55, v3 dst_sel:DWORD dst_unused:UNUSED_PAD src0_sel:DWORD src1_sel:WORD_1
	v_fma_f16 v37, v37, v3, v55
	v_mul_f16_sdwa v55, v25, v1 dst_sel:DWORD dst_unused:UNUSED_PAD src0_sel:DWORD src1_sel:WORD_1
	v_fma_f16 v55, v53, v1, -v55
	v_mul_f16_sdwa v53, v53, v1 dst_sel:DWORD dst_unused:UNUSED_PAD src0_sel:DWORD src1_sel:WORD_1
	v_fma_f16 v1, v25, v1, v53
	s_waitcnt lgkmcnt(0)
	v_mul_f16_sdwa v25, v40, v2 dst_sel:DWORD dst_unused:UNUSED_PAD src0_sel:DWORD src1_sel:WORD_1
	v_mul_f16_sdwa v53, v59, v2 dst_sel:DWORD dst_unused:UNUSED_PAD src0_sel:DWORD src1_sel:WORD_1
	v_fma_f16 v41, v58, v3, -v41
	v_fma_f16 v25, v59, v2, -v25
	v_fma_f16 v2, v40, v2, v53
	v_mul_f16_sdwa v40, v39, v3 dst_sel:DWORD dst_unused:UNUSED_PAD src0_sel:DWORD src1_sel:WORD_1
	v_mul_f16_sdwa v53, v56, v3 dst_sel:DWORD dst_unused:UNUSED_PAD src0_sel:DWORD src1_sel:WORD_1
	v_fma_f16 v51, v57, v3, -v51
	v_fma_f16 v40, v56, v3, -v40
	v_fma_f16 v3, v39, v3, v53
	v_sub_f16_e32 v30, v35, v30
	v_sub_f16_e32 v39, v29, v41
	v_fma_f16 v35, v35, 2.0, -v30
	v_fma_f16 v29, v29, 2.0, -v39
	v_sub_f16_e32 v33, v5, v33
	v_sub_f16_e32 v29, v35, v29
	v_and_or_b32 v58, v11, s0, v4
	v_fma_f16 v5, v5, 2.0, -v33
	v_sub_f16_e32 v33, v30, v33
	v_fma_f16 v35, v35, 2.0, -v29
	v_lshl_add_u32 v58, v58, 1, 0
	v_fma_f16 v30, v30, 2.0, -v33
	ds_read_u16 v41, v23
	ds_read_u16 v53, v22
	;; [unrolled: 1-line block ×4, first 2 shown]
	s_waitcnt lgkmcnt(0)
	s_barrier
	ds_write_b16 v58, v35
	ds_write_b16 v58, v30 offset:8
	ds_write_b16 v58, v29 offset:16
	ds_write_b16 v58, v33 offset:24
	v_sub_f16_e32 v29, v47, v38
	v_sub_f16_e32 v33, v42, v51
	v_fma_f16 v30, v47, 2.0, -v29
	v_fma_f16 v35, v42, 2.0, -v33
	s_movk_i32 s0, 0x3f0
	v_lshlrev_b32_e32 v38, 2, v12
	v_sub_f16_e32 v35, v30, v35
	v_and_or_b32 v42, v38, s0, v4
	v_fma_f16 v30, v30, 2.0, -v35
	v_lshl_add_u32 v42, v42, 1, 0
	ds_write_b16 v42, v30
	v_sub_f16_e32 v30, v6, v34
	v_sub_f16_e32 v34, v29, v30
	v_fma_f16 v29, v29, 2.0, -v34
	ds_write_b16 v42, v29 offset:8
	ds_write_b16 v42, v35 offset:16
	ds_write_b16 v42, v34 offset:24
	v_sub_f16_e32 v29, v48, v43
	v_sub_f16_e32 v35, v52, v45
	v_fma_f16 v34, v48, 2.0, -v29
	v_fma_f16 v43, v52, 2.0, -v35
	s_movk_i32 s0, 0x5f0
	v_lshlrev_b32_e32 v45, 2, v13
	v_sub_f16_e32 v43, v34, v43
	v_and_or_b32 v47, v45, s0, v4
	v_fma_f16 v34, v34, 2.0, -v43
	v_lshl_add_u32 v47, v47, 1, 0
	ds_write_b16 v47, v34
	v_sub_f16_e32 v34, v7, v36
	v_sub_f16_e32 v36, v29, v34
	v_fma_f16 v29, v29, 2.0, -v36
	;; [unrolled: 17-line block ×3, first 2 shown]
	ds_write_b16 v48, v29 offset:8
	ds_write_b16 v48, v44 offset:16
	;; [unrolled: 1-line block ×3, first 2 shown]
	v_sub_f16_e32 v25, v50, v25
	v_sub_f16_e32 v37, v55, v40
	v_fma_f16 v29, v50, 2.0, -v25
	v_fma_f16 v40, v55, 2.0, -v37
	s_movk_i32 s0, 0x9f0
	v_lshlrev_b32_e32 v44, 2, v16
	v_sub_f16_e32 v40, v29, v40
	v_and_or_b32 v4, v44, s0, v4
	v_fma_f16 v29, v29, 2.0, -v40
	v_lshl_add_u32 v4, v4, 1, 0
	v_sub_f16_e32 v3, v1, v3
	ds_write_b16 v4, v29
	v_sub_f16_e32 v29, v25, v3
	v_fma_f16 v25, v25, 2.0, -v29
	ds_write_b16 v4, v25 offset:8
	ds_write_b16 v4, v40 offset:16
	;; [unrolled: 1-line block ×3, first 2 shown]
	v_sub_f16_e32 v25, v28, v27
	v_fma_f16 v27, v28, 2.0, -v25
	v_sub_f16_e32 v5, v27, v5
	v_fma_f16 v27, v27, 2.0, -v5
	s_waitcnt lgkmcnt(0)
	s_barrier
	ds_read_u16 v28, v17
	ds_read_u16 v29, v17 offset:1280
	ds_read_u16 v40, v17 offset:1536
	;; [unrolled: 1-line block ×6, first 2 shown]
	ds_read_u16 v54, v23
	ds_read_u16 v55, v22
	ds_read_u16 v59, v21
	ds_read_u16 v60, v24
	ds_read_u16 v61, v17 offset:2816
	ds_read_u16 v62, v17 offset:2560
	;; [unrolled: 1-line block ×9, first 2 shown]
	s_waitcnt lgkmcnt(0)
	s_barrier
	ds_write_b16 v58, v27
	v_add_f16_e32 v27, v25, v39
	v_fma_f16 v25, v25, 2.0, -v27
	ds_write_b16 v58, v25 offset:8
	ds_write_b16 v58, v5 offset:16
	;; [unrolled: 1-line block ×3, first 2 shown]
	v_fma_f16 v5, v6, 2.0, -v30
	v_sub_f16_e32 v6, v41, v26
	v_fma_f16 v25, v41, 2.0, -v6
	v_sub_f16_e32 v5, v25, v5
	v_fma_f16 v25, v25, 2.0, -v5
	ds_write_b16 v42, v25
	v_add_f16_e32 v25, v6, v33
	v_fma_f16 v6, v6, 2.0, -v25
	ds_write_b16 v42, v6 offset:8
	ds_write_b16 v42, v5 offset:16
	;; [unrolled: 1-line block ×3, first 2 shown]
	v_sub_f16_e32 v6, v53, v31
	v_fma_f16 v5, v7, 2.0, -v34
	v_fma_f16 v7, v53, 2.0, -v6
	v_sub_f16_e32 v5, v7, v5
	v_fma_f16 v7, v7, 2.0, -v5
	ds_write_b16 v47, v7
	v_add_f16_e32 v7, v6, v35
	v_fma_f16 v6, v6, 2.0, -v7
	ds_write_b16 v47, v6 offset:8
	ds_write_b16 v47, v5 offset:16
	;; [unrolled: 1-line block ×3, first 2 shown]
	v_sub_f16_e32 v6, v56, v32
	v_fma_f16 v5, v8, 2.0, -v36
	v_fma_f16 v7, v56, 2.0, -v6
	v_sub_f16_e32 v5, v7, v5
	v_sub_f16_e32 v2, v57, v2
	v_fma_f16 v7, v7, 2.0, -v5
	v_fma_f16 v1, v1, 2.0, -v3
	;; [unrolled: 1-line block ×3, first 2 shown]
	ds_write_b16 v48, v7
	v_add_f16_e32 v7, v6, v43
	v_sub_f16_e32 v1, v3, v1
	v_fma_f16 v6, v6, 2.0, -v7
	v_fma_f16 v3, v3, 2.0, -v1
	ds_write_b16 v48, v6 offset:8
	ds_write_b16 v48, v5 offset:16
	ds_write_b16 v48, v7 offset:24
	ds_write_b16 v4, v3
	v_add_f16_e32 v3, v2, v37
	v_fma_f16 v2, v2, 2.0, -v3
	ds_write_b16 v4, v2 offset:8
	ds_write_b16 v4, v1 offset:16
	;; [unrolled: 1-line block ×3, first 2 shown]
	v_and_b32_e32 v4, 15, v0
	v_mul_u32_u24_e32 v1, 3, v4
	v_lshlrev_b32_e32 v1, 2, v1
	s_waitcnt lgkmcnt(0)
	s_barrier
	global_load_dwordx3 v[1:3], v1, s[8:9] offset:48
	ds_read_u16 v5, v17 offset:1280
	ds_read_u16 v6, v17 offset:1536
	;; [unrolled: 1-line block ×7, first 2 shown]
	ds_read_u16 v30, v17
	s_movk_i32 s0, 0x1c0
	s_waitcnt vmcnt(0) lgkmcnt(7)
	v_mul_f16_sdwa v31, v5, v1 dst_sel:DWORD dst_unused:UNUSED_PAD src0_sel:DWORD src1_sel:WORD_1
	v_fma_f16 v31, v29, v1, -v31
	v_mul_f16_sdwa v29, v29, v1 dst_sel:DWORD dst_unused:UNUSED_PAD src0_sel:DWORD src1_sel:WORD_1
	v_mul_f16_sdwa v32, v62, v2 dst_sel:DWORD dst_unused:UNUSED_PAD src0_sel:DWORD src1_sel:WORD_1
	v_fma_f16 v5, v5, v1, v29
	s_waitcnt lgkmcnt(2)
	v_mul_f16_sdwa v29, v26, v2 dst_sel:DWORD dst_unused:UNUSED_PAD src0_sel:DWORD src1_sel:WORD_1
	v_fma_f16 v26, v26, v2, v32
	ds_read_u16 v32, v17 offset:3072
	ds_read_u16 v33, v17 offset:3328
	;; [unrolled: 1-line block ×8, first 2 shown]
	v_mul_f16_sdwa v43, v68, v3 dst_sel:DWORD dst_unused:UNUSED_PAD src0_sel:DWORD src1_sel:WORD_1
	s_waitcnt lgkmcnt(5)
	v_mul_f16_sdwa v42, v34, v3 dst_sel:DWORD dst_unused:UNUSED_PAD src0_sel:DWORD src1_sel:WORD_1
	v_fma_f16 v34, v34, v3, v43
	v_mul_f16_sdwa v43, v6, v1 dst_sel:DWORD dst_unused:UNUSED_PAD src0_sel:DWORD src1_sel:WORD_1
	v_fma_f16 v43, v40, v1, -v43
	v_mul_f16_sdwa v40, v40, v1 dst_sel:DWORD dst_unused:UNUSED_PAD src0_sel:DWORD src1_sel:WORD_1
	v_mul_f16_sdwa v47, v61, v2 dst_sel:DWORD dst_unused:UNUSED_PAD src0_sel:DWORD src1_sel:WORD_1
	v_mul_f16_sdwa v48, v67, v3 dst_sel:DWORD dst_unused:UNUSED_PAD src0_sel:DWORD src1_sel:WORD_1
	v_fma_f16 v6, v6, v1, v40
	v_mul_f16_sdwa v40, v25, v2 dst_sel:DWORD dst_unused:UNUSED_PAD src0_sel:DWORD src1_sel:WORD_1
	v_fma_f16 v47, v25, v2, v47
	s_waitcnt lgkmcnt(4)
	v_mul_f16_sdwa v25, v35, v3 dst_sel:DWORD dst_unused:UNUSED_PAD src0_sel:DWORD src1_sel:WORD_1
	v_fma_f16 v35, v35, v3, v48
	v_mul_f16_sdwa v48, v7, v1 dst_sel:DWORD dst_unused:UNUSED_PAD src0_sel:DWORD src1_sel:WORD_1
	v_fma_f16 v48, v49, v1, -v48
	v_mul_f16_sdwa v49, v49, v1 dst_sel:DWORD dst_unused:UNUSED_PAD src0_sel:DWORD src1_sel:WORD_1
	v_fma_f16 v7, v7, v1, v49
	v_mul_f16_sdwa v49, v32, v2 dst_sel:DWORD dst_unused:UNUSED_PAD src0_sel:DWORD src1_sel:WORD_1
	v_fma_f16 v49, v51, v2, -v49
	v_mul_f16_sdwa v51, v51, v2 dst_sel:DWORD dst_unused:UNUSED_PAD src0_sel:DWORD src1_sel:WORD_1
	v_mul_f16_sdwa v53, v64, v3 dst_sel:DWORD dst_unused:UNUSED_PAD src0_sel:DWORD src1_sel:WORD_1
	v_fma_f16 v51, v32, v2, v51
	s_waitcnt lgkmcnt(3)
	v_mul_f16_sdwa v32, v36, v3 dst_sel:DWORD dst_unused:UNUSED_PAD src0_sel:DWORD src1_sel:WORD_1
	v_fma_f16 v36, v36, v3, v53
	v_mul_f16_sdwa v53, v8, v1 dst_sel:DWORD dst_unused:UNUSED_PAD src0_sel:DWORD src1_sel:WORD_1
	v_fma_f16 v53, v50, v1, -v53
	v_mul_f16_sdwa v50, v50, v1 dst_sel:DWORD dst_unused:UNUSED_PAD src0_sel:DWORD src1_sel:WORD_1
	v_fma_f16 v8, v8, v1, v50
	v_mul_f16_sdwa v50, v33, v2 dst_sel:DWORD dst_unused:UNUSED_PAD src0_sel:DWORD src1_sel:WORD_1
	v_fma_f16 v50, v52, v2, -v50
	v_mul_f16_sdwa v52, v52, v2 dst_sel:DWORD dst_unused:UNUSED_PAD src0_sel:DWORD src1_sel:WORD_1
	v_mul_f16_sdwa v56, v65, v3 dst_sel:DWORD dst_unused:UNUSED_PAD src0_sel:DWORD src1_sel:WORD_1
	v_fma_f16 v52, v33, v2, v52
	s_waitcnt lgkmcnt(2)
	v_mul_f16_sdwa v33, v37, v3 dst_sel:DWORD dst_unused:UNUSED_PAD src0_sel:DWORD src1_sel:WORD_1
	v_fma_f16 v37, v37, v3, v56
	v_mul_f16_sdwa v56, v27, v1 dst_sel:DWORD dst_unused:UNUSED_PAD src0_sel:DWORD src1_sel:WORD_1
	v_mul_f16_sdwa v57, v63, v1 dst_sel:DWORD dst_unused:UNUSED_PAD src0_sel:DWORD src1_sel:WORD_1
	v_fma_f16 v56, v63, v1, -v56
	v_fma_f16 v1, v27, v1, v57
	s_waitcnt lgkmcnt(0)
	v_mul_f16_sdwa v27, v41, v2 dst_sel:DWORD dst_unused:UNUSED_PAD src0_sel:DWORD src1_sel:WORD_1
	v_mul_f16_sdwa v57, v69, v2 dst_sel:DWORD dst_unused:UNUSED_PAD src0_sel:DWORD src1_sel:WORD_1
	v_fma_f16 v29, v62, v2, -v29
	v_fma_f16 v42, v68, v3, -v42
	;; [unrolled: 1-line block ×4, first 2 shown]
	v_fma_f16 v2, v41, v2, v57
	v_mul_f16_sdwa v41, v39, v3 dst_sel:DWORD dst_unused:UNUSED_PAD src0_sel:DWORD src1_sel:WORD_1
	v_mul_f16_sdwa v57, v66, v3 dst_sel:DWORD dst_unused:UNUSED_PAD src0_sel:DWORD src1_sel:WORD_1
	v_fma_f16 v25, v67, v3, -v25
	v_fma_f16 v32, v64, v3, -v32
	v_fma_f16 v33, v65, v3, -v33
	v_fma_f16 v41, v66, v3, -v41
	v_fma_f16 v3, v39, v3, v57
	v_sub_f16_e32 v29, v28, v29
	v_sub_f16_e32 v57, v31, v42
	v_fma_f16 v28, v28, 2.0, -v29
	v_fma_f16 v31, v31, 2.0, -v57
	v_sub_f16_e32 v31, v28, v31
	v_and_or_b32 v39, v11, s0, v4
	v_fma_f16 v28, v28, 2.0, -v31
	v_lshl_add_u32 v64, v39, 1, 0
	ds_read_u16 v58, v23
	ds_read_u16 v61, v22
	;; [unrolled: 1-line block ×4, first 2 shown]
	s_waitcnt lgkmcnt(0)
	s_barrier
	ds_write_b16 v64, v28
	v_sub_f16_e32 v28, v5, v34
	v_fma_f16 v5, v5, 2.0, -v28
	v_sub_f16_e32 v28, v29, v28
	v_fma_f16 v29, v29, 2.0, -v28
	ds_write_b16 v64, v29 offset:32
	ds_write_b16 v64, v31 offset:64
	;; [unrolled: 1-line block ×3, first 2 shown]
	v_sub_f16_e32 v28, v54, v40
	v_fma_f16 v29, v54, 2.0, -v28
	v_sub_f16_e32 v54, v43, v25
	v_fma_f16 v25, v43, 2.0, -v54
	s_movk_i32 s0, 0x3c0
	v_sub_f16_e32 v25, v29, v25
	v_and_or_b32 v31, v38, s0, v4
	v_fma_f16 v29, v29, 2.0, -v25
	v_lshl_add_u32 v65, v31, 1, 0
	v_sub_f16_e32 v66, v6, v35
	ds_write_b16 v65, v29
	v_sub_f16_e32 v29, v28, v66
	v_fma_f16 v28, v28, 2.0, -v29
	ds_write_b16 v65, v28 offset:32
	ds_write_b16 v65, v25 offset:64
	;; [unrolled: 1-line block ×3, first 2 shown]
	v_sub_f16_e32 v25, v55, v49
	v_sub_f16_e32 v49, v48, v32
	v_fma_f16 v28, v55, 2.0, -v25
	v_fma_f16 v29, v48, 2.0, -v49
	s_movk_i32 s0, 0x5c0
	v_sub_f16_e32 v29, v28, v29
	v_and_or_b32 v31, v45, s0, v4
	v_fma_f16 v28, v28, 2.0, -v29
	v_lshl_add_u32 v48, v31, 1, 0
	v_sub_f16_e32 v55, v7, v36
	ds_write_b16 v48, v28
	v_sub_f16_e32 v28, v25, v55
	v_fma_f16 v25, v25, 2.0, -v28
	ds_write_b16 v48, v25 offset:32
	ds_write_b16 v48, v29 offset:64
	;; [unrolled: 1-line block ×3, first 2 shown]
	v_sub_f16_e32 v25, v59, v50
	v_sub_f16_e32 v50, v53, v33
	v_fma_f16 v28, v59, 2.0, -v25
	v_fma_f16 v29, v53, 2.0, -v50
	s_movk_i32 s0, 0x7c0
	v_sub_f16_e32 v29, v28, v29
	v_and_or_b32 v31, v46, s0, v4
	v_fma_f16 v28, v28, 2.0, -v29
	v_lshl_add_u32 v46, v31, 1, 0
	v_sub_f16_e32 v53, v8, v37
	ds_write_b16 v46, v28
	v_sub_f16_e32 v28, v25, v53
	v_fma_f16 v25, v25, 2.0, -v28
	ds_write_b16 v46, v25 offset:32
	ds_write_b16 v46, v29 offset:64
	;; [unrolled: 1-line block ×3, first 2 shown]
	v_sub_f16_e32 v25, v60, v27
	v_sub_f16_e32 v59, v56, v41
	s_movk_i32 s0, 0x9c0
	v_fma_f16 v27, v60, 2.0, -v25
	v_fma_f16 v28, v56, 2.0, -v59
	v_and_or_b32 v4, v44, s0, v4
	v_sub_f16_e32 v28, v27, v28
	v_fma_f16 v27, v27, 2.0, -v28
	v_lshl_add_u32 v4, v4, 1, 0
	v_sub_f16_e32 v3, v1, v3
	ds_write_b16 v4, v27
	v_sub_f16_e32 v27, v25, v3
	v_fma_f16 v25, v25, 2.0, -v27
	v_sub_f16_e32 v26, v30, v26
	ds_write_b16 v4, v25 offset:32
	ds_write_b16 v4, v28 offset:64
	;; [unrolled: 1-line block ×3, first 2 shown]
	v_fma_f16 v25, v30, 2.0, -v26
	v_sub_f16_e32 v5, v25, v5
	v_fma_f16 v56, v25, 2.0, -v5
	s_waitcnt lgkmcnt(0)
	s_barrier
	ds_read_u16 v27, v17
	ds_read_u16 v40, v17 offset:768
	ds_read_u16 v35, v17 offset:2560
	;; [unrolled: 1-line block ×15, first 2 shown]
	ds_read_u16 v44, v24
	ds_read_u16 v45, v22
	;; [unrolled: 1-line block ×3, first 2 shown]
	ds_read_u16 v30, v17 offset:4864
	s_waitcnt lgkmcnt(0)
	s_barrier
	ds_write_b16 v64, v56
	v_add_f16_e32 v56, v26, v57
	v_fma_f16 v26, v26, 2.0, -v56
	ds_write_b16 v64, v26 offset:32
	ds_write_b16 v64, v5 offset:64
	;; [unrolled: 1-line block ×3, first 2 shown]
	v_fma_f16 v5, v6, 2.0, -v66
	v_sub_f16_e32 v6, v58, v47
	v_fma_f16 v26, v58, 2.0, -v6
	v_sub_f16_e32 v5, v26, v5
	v_fma_f16 v26, v26, 2.0, -v5
	ds_write_b16 v65, v26
	v_add_f16_e32 v26, v6, v54
	v_fma_f16 v6, v6, 2.0, -v26
	ds_write_b16 v65, v6 offset:32
	ds_write_b16 v65, v5 offset:64
	;; [unrolled: 1-line block ×3, first 2 shown]
	v_sub_f16_e32 v6, v61, v51
	v_fma_f16 v5, v7, 2.0, -v55
	v_fma_f16 v7, v61, 2.0, -v6
	v_sub_f16_e32 v5, v7, v5
	v_fma_f16 v7, v7, 2.0, -v5
	ds_write_b16 v48, v7
	v_add_f16_e32 v7, v6, v49
	v_fma_f16 v6, v6, 2.0, -v7
	ds_write_b16 v48, v6 offset:32
	ds_write_b16 v48, v5 offset:64
	;; [unrolled: 1-line block ×3, first 2 shown]
	v_sub_f16_e32 v6, v62, v52
	v_fma_f16 v5, v8, 2.0, -v53
	v_fma_f16 v7, v62, 2.0, -v6
	v_sub_f16_e32 v5, v7, v5
	v_sub_f16_e32 v2, v63, v2
	v_fma_f16 v7, v7, 2.0, -v5
	v_fma_f16 v1, v1, 2.0, -v3
	;; [unrolled: 1-line block ×3, first 2 shown]
	ds_write_b16 v46, v7
	v_add_f16_e32 v7, v6, v50
	v_sub_f16_e32 v1, v3, v1
	v_fma_f16 v6, v6, 2.0, -v7
	v_fma_f16 v3, v3, 2.0, -v1
	ds_write_b16 v46, v6 offset:32
	ds_write_b16 v46, v5 offset:64
	;; [unrolled: 1-line block ×3, first 2 shown]
	ds_write_b16 v4, v3
	v_add_f16_e32 v3, v2, v59
	v_fma_f16 v2, v2, 2.0, -v3
	v_and_b32_e32 v26, 63, v0
	ds_write_b16 v4, v2 offset:32
	ds_write_b16 v4, v1 offset:64
	;; [unrolled: 1-line block ×3, first 2 shown]
	v_mul_u32_u24_e32 v1, 9, v26
	v_lshlrev_b32_e32 v46, 2, v1
	s_waitcnt lgkmcnt(0)
	s_barrier
	global_load_dwordx4 v[1:4], v46, s[8:9] offset:240
	global_load_dwordx4 v[5:8], v46, s[8:9] offset:256
	ds_read_u16 v48, v22
	ds_read_u16 v49, v24
	ds_read_u16 v47, v17 offset:4864
	ds_read_u16 v50, v23
	global_load_dword v46, v46, s[8:9] offset:272
	s_movk_i32 s0, 0x34f2
	s_waitcnt vmcnt(2) lgkmcnt(3)
	v_mul_f16_sdwa v51, v48, v1 dst_sel:DWORD dst_unused:UNUSED_PAD src0_sel:DWORD src1_sel:WORD_1
	v_fma_f16 v51, v45, v1, -v51
	v_mul_f16_sdwa v45, v45, v1 dst_sel:DWORD dst_unused:UNUSED_PAD src0_sel:DWORD src1_sel:WORD_1
	v_fma_f16 v45, v48, v1, v45
	s_waitcnt lgkmcnt(2)
	v_mul_f16_sdwa v48, v49, v2 dst_sel:DWORD dst_unused:UNUSED_PAD src0_sel:DWORD src1_sel:WORD_1
	v_fma_f16 v48, v44, v2, -v48
	v_mul_f16_sdwa v44, v44, v2 dst_sel:DWORD dst_unused:UNUSED_PAD src0_sel:DWORD src1_sel:WORD_1
	v_fma_f16 v44, v49, v2, v44
	ds_read_u16 v49, v17 offset:1536
	ds_read_u16 v52, v17 offset:1792
	ds_read_u16 v53, v17 offset:2560
	ds_read_u16 v54, v17 offset:2304
	ds_read_u16 v55, v17 offset:2048
	ds_read_u16 v56, v17 offset:1280
	ds_read_u16 v58, v17 offset:768
	s_waitcnt lgkmcnt(6)
	v_mul_f16_sdwa v57, v49, v3 dst_sel:DWORD dst_unused:UNUSED_PAD src0_sel:DWORD src1_sel:WORD_1
	v_fma_f16 v57, v43, v3, -v57
	v_mul_f16_sdwa v43, v43, v3 dst_sel:DWORD dst_unused:UNUSED_PAD src0_sel:DWORD src1_sel:WORD_1
	v_fma_f16 v43, v49, v3, v43
	s_waitcnt lgkmcnt(2)
	v_mul_f16_sdwa v49, v55, v4 dst_sel:DWORD dst_unused:UNUSED_PAD src0_sel:DWORD src1_sel:WORD_1
	v_fma_f16 v49, v42, v4, -v49
	v_mul_f16_sdwa v42, v42, v4 dst_sel:DWORD dst_unused:UNUSED_PAD src0_sel:DWORD src1_sel:WORD_1
	v_fma_f16 v42, v55, v4, v42
	ds_read_u16 v55, v17
	s_waitcnt lgkmcnt(1)
	v_mul_f16_sdwa v59, v58, v1 dst_sel:DWORD dst_unused:UNUSED_PAD src0_sel:DWORD src1_sel:WORD_1
	v_fma_f16 v59, v40, v1, -v59
	v_mul_f16_sdwa v40, v40, v1 dst_sel:DWORD dst_unused:UNUSED_PAD src0_sel:DWORD src1_sel:WORD_1
	v_fma_f16 v40, v58, v1, v40
	v_mul_f16_sdwa v1, v56, v2 dst_sel:DWORD dst_unused:UNUSED_PAD src0_sel:DWORD src1_sel:WORD_1
	v_fma_f16 v58, v41, v2, -v1
	v_mul_f16_sdwa v1, v41, v2 dst_sel:DWORD dst_unused:UNUSED_PAD src0_sel:DWORD src1_sel:WORD_1
	v_fma_f16 v41, v56, v2, v1
	v_mul_f16_sdwa v1, v52, v3 dst_sel:DWORD dst_unused:UNUSED_PAD src0_sel:DWORD src1_sel:WORD_1
	v_mul_f16_sdwa v2, v39, v3 dst_sel:DWORD dst_unused:UNUSED_PAD src0_sel:DWORD src1_sel:WORD_1
	v_fma_f16 v1, v39, v3, -v1
	v_fma_f16 v39, v52, v3, v2
	ds_read_u16 v3, v17 offset:3072
	v_mul_f16_sdwa v2, v54, v4 dst_sel:DWORD dst_unused:UNUSED_PAD src0_sel:DWORD src1_sel:WORD_1
	v_fma_f16 v52, v38, v4, -v2
	v_mul_f16_sdwa v2, v38, v4 dst_sel:DWORD dst_unused:UNUSED_PAD src0_sel:DWORD src1_sel:WORD_1
	v_fma_f16 v38, v54, v4, v2
	s_waitcnt vmcnt(1)
	v_mul_f16_sdwa v2, v53, v5 dst_sel:DWORD dst_unused:UNUSED_PAD src0_sel:DWORD src1_sel:WORD_1
	v_mul_f16_sdwa v4, v35, v5 dst_sel:DWORD dst_unused:UNUSED_PAD src0_sel:DWORD src1_sel:WORD_1
	v_fma_f16 v2, v35, v5, -v2
	v_fma_f16 v4, v53, v5, v4
	ds_read_u16 v35, v17 offset:4352
	ds_read_u16 v53, v17 offset:4608
	;; [unrolled: 1-line block ×7, first 2 shown]
	s_waitcnt lgkmcnt(7)
	v_mul_f16_sdwa v63, v3, v6 dst_sel:DWORD dst_unused:UNUSED_PAD src0_sel:DWORD src1_sel:WORD_1
	v_fma_f16 v63, v37, v6, -v63
	v_mul_f16_sdwa v37, v37, v6 dst_sel:DWORD dst_unused:UNUSED_PAD src0_sel:DWORD src1_sel:WORD_1
	v_fma_f16 v3, v3, v6, v37
	s_waitcnt lgkmcnt(2)
	v_mul_f16_sdwa v37, v60, v7 dst_sel:DWORD dst_unused:UNUSED_PAD src0_sel:DWORD src1_sel:WORD_1
	v_fma_f16 v37, v36, v7, -v37
	v_mul_f16_sdwa v36, v36, v7 dst_sel:DWORD dst_unused:UNUSED_PAD src0_sel:DWORD src1_sel:WORD_1
	v_fma_f16 v36, v60, v7, v36
	v_mul_f16_sdwa v60, v54, v8 dst_sel:DWORD dst_unused:UNUSED_PAD src0_sel:DWORD src1_sel:WORD_1
	v_fma_f16 v60, v33, v8, -v60
	v_mul_f16_sdwa v33, v33, v8 dst_sel:DWORD dst_unused:UNUSED_PAD src0_sel:DWORD src1_sel:WORD_1
	v_fma_f16 v33, v54, v8, v33
	s_waitcnt lgkmcnt(0)
	v_mul_f16_sdwa v54, v62, v5 dst_sel:DWORD dst_unused:UNUSED_PAD src0_sel:DWORD src1_sel:WORD_1
	v_fma_f16 v54, v34, v5, -v54
	v_mul_f16_sdwa v34, v34, v5 dst_sel:DWORD dst_unused:UNUSED_PAD src0_sel:DWORD src1_sel:WORD_1
	v_fma_f16 v34, v62, v5, v34
	v_mul_f16_sdwa v5, v61, v6 dst_sel:DWORD dst_unused:UNUSED_PAD src0_sel:DWORD src1_sel:WORD_1
	v_fma_f16 v62, v32, v6, -v5
	v_mul_f16_sdwa v5, v32, v6 dst_sel:DWORD dst_unused:UNUSED_PAD src0_sel:DWORD src1_sel:WORD_1
	v_fma_f16 v61, v61, v6, v5
	v_mul_f16_sdwa v6, v31, v7 dst_sel:DWORD dst_unused:UNUSED_PAD src0_sel:DWORD src1_sel:WORD_1
	v_mul_f16_sdwa v5, v56, v7 dst_sel:DWORD dst_unused:UNUSED_PAD src0_sel:DWORD src1_sel:WORD_1
	v_fma_f16 v56, v56, v7, v6
	v_mul_f16_sdwa v6, v35, v8 dst_sel:DWORD dst_unused:UNUSED_PAD src0_sel:DWORD src1_sel:WORD_1
	v_fma_f16 v64, v29, v8, -v6
	v_mul_f16_sdwa v6, v29, v8 dst_sel:DWORD dst_unused:UNUSED_PAD src0_sel:DWORD src1_sel:WORD_1
	v_fma_f16 v35, v35, v8, v6
	s_waitcnt vmcnt(0)
	v_mul_f16_sdwa v6, v53, v46 dst_sel:DWORD dst_unused:UNUSED_PAD src0_sel:DWORD src1_sel:WORD_1
	v_fma_f16 v5, v31, v7, -v5
	v_fma_f16 v6, v28, v46, -v6
	v_mul_f16_sdwa v7, v28, v46 dst_sel:DWORD dst_unused:UNUSED_PAD src0_sel:DWORD src1_sel:WORD_1
	v_mul_f16_sdwa v8, v47, v46 dst_sel:DWORD dst_unused:UNUSED_PAD src0_sel:DWORD src1_sel:WORD_1
	;; [unrolled: 1-line block ×3, first 2 shown]
	v_fma_f16 v7, v53, v46, v7
	v_fma_f16 v8, v30, v46, -v8
	v_fma_f16 v46, v47, v46, v28
	v_sub_f16_e32 v28, v48, v49
	v_sub_f16_e32 v29, v60, v63
	v_add_f16_e32 v28, v28, v29
	v_add_f16_e32 v29, v49, v63
	v_fma_f16 v29, v29, -0.5, v27
	v_sub_f16_e32 v30, v44, v33
	v_fma_f16 v31, v30, s6, v29
	v_sub_f16_e32 v32, v42, v3
	v_fma_f16 v29, v30, s1, v29
	v_fma_f16 v31, v32, s5, v31
	;; [unrolled: 1-line block ×5, first 2 shown]
	v_sub_f16_e32 v29, v49, v48
	v_sub_f16_e32 v47, v63, v60
	v_add_f16_e32 v29, v29, v47
	v_add_f16_e32 v47, v48, v60
	v_fma_f16 v47, v47, -0.5, v27
	v_fma_f16 v53, v32, s1, v47
	v_fma_f16 v32, v32, s6, v47
	;; [unrolled: 1-line block ×4, first 2 shown]
	v_add_f16_e32 v27, v27, v48
	v_fma_f16 v32, v29, s0, v47
	v_fma_f16 v29, v29, s0, v30
	v_add_f16_e32 v27, v27, v49
	v_sub_f16_e32 v30, v48, v60
	v_sub_f16_e32 v47, v49, v63
	;; [unrolled: 1-line block ×4, first 2 shown]
	v_add_f16_e32 v48, v48, v49
	v_add_f16_e32 v49, v42, v3
	v_fma_f16 v49, v49, -0.5, v55
	v_fma_f16 v53, v30, s1, v49
	v_fma_f16 v49, v30, s6, v49
	;; [unrolled: 1-line block ×6, first 2 shown]
	v_add_f16_e32 v49, v44, v33
	v_fma_f16 v49, v49, -0.5, v55
	v_add_f16_e32 v55, v55, v44
	v_add_f16_e32 v55, v55, v42
	v_sub_f16_e32 v42, v42, v44
	v_add_f16_e32 v44, v55, v3
	v_sub_f16_e32 v3, v3, v33
	v_add_f16_e32 v44, v44, v33
	v_add_f16_e32 v3, v42, v3
	v_fma_f16 v33, v47, s6, v49
	v_fma_f16 v42, v47, s1, v49
	;; [unrolled: 1-line block ×6, first 2 shown]
	v_sub_f16_e32 v30, v57, v2
	v_sub_f16_e32 v42, v6, v37
	v_add_f16_e32 v30, v30, v42
	v_add_f16_e32 v42, v2, v37
	v_fma_f16 v42, v42, -0.5, v51
	v_sub_f16_e32 v47, v43, v7
	v_fma_f16 v49, v47, s6, v42
	v_sub_f16_e32 v55, v4, v36
	v_fma_f16 v42, v47, s1, v42
	v_add_f16_e32 v27, v27, v63
	v_fma_f16 v49, v55, s5, v49
	v_fma_f16 v42, v55, s4, v42
	v_add_f16_e32 v27, v27, v60
	v_fma_f16 v49, v30, s0, v49
	v_fma_f16 v30, v30, s0, v42
	v_sub_f16_e32 v42, v2, v57
	v_sub_f16_e32 v60, v37, v6
	v_add_f16_e32 v42, v42, v60
	v_add_f16_e32 v60, v57, v6
	v_fma_f16 v60, v60, -0.5, v51
	v_fma_f16 v63, v55, s1, v60
	v_fma_f16 v55, v55, s6, v60
	;; [unrolled: 1-line block ×6, first 2 shown]
	v_add_f16_e32 v47, v51, v57
	v_add_f16_e32 v47, v47, v2
	;; [unrolled: 1-line block ×3, first 2 shown]
	v_sub_f16_e32 v2, v2, v37
	v_sub_f16_e32 v37, v43, v4
	;; [unrolled: 1-line block ×3, first 2 shown]
	v_add_f16_e32 v37, v37, v51
	v_add_f16_e32 v51, v4, v36
	;; [unrolled: 1-line block ×3, first 2 shown]
	v_sub_f16_e32 v6, v57, v6
	v_fma_f16 v51, v51, -0.5, v45
	v_fma_f16 v57, v6, s1, v51
	v_fma_f16 v51, v6, s6, v51
	;; [unrolled: 1-line block ×6, first 2 shown]
	v_add_f16_e32 v51, v43, v7
	v_fma_f16 v51, v51, -0.5, v45
	v_add_f16_e32 v45, v45, v43
	v_add_f16_e32 v45, v45, v4
	v_sub_f16_e32 v4, v4, v43
	v_add_f16_e32 v43, v45, v36
	v_add_f16_e32 v43, v43, v7
	v_sub_f16_e32 v7, v36, v7
	v_add_f16_e32 v4, v4, v7
	v_fma_f16 v7, v2, s6, v51
	v_fma_f16 v2, v2, s1, v51
	;; [unrolled: 1-line block ×5, first 2 shown]
	v_mul_f16_e32 v45, 0xbb9c, v55
	v_fma_f16 v2, v4, s0, v2
	v_mul_f16_e32 v36, 0x3b9c, v6
	v_fma_f16 v6, v6, s0, v45
	v_mul_f16_e32 v45, 0x34f2, v42
	v_fma_f16 v45, v2, s6, -v45
	v_mul_f16_e32 v2, 0x34f2, v2
	v_mul_f16_e32 v4, 0x38b4, v57
	;; [unrolled: 1-line block ×3, first 2 shown]
	v_fma_f16 v2, v42, s1, -v2
	v_mul_f16_e32 v42, 0x3a79, v30
	v_fma_f16 v4, v49, s7, v4
	v_fma_f16 v7, v57, s7, v7
	;; [unrolled: 1-line block ×3, first 2 shown]
	v_fma_f16 v42, v37, s5, -v42
	v_mul_f16_e32 v37, 0x3a79, v37
	v_fma_f16 v30, v30, s4, -v37
	v_add_f16_e32 v37, v27, v47
	v_sub_f16_e32 v27, v27, v47
	v_add_f16_e32 v47, v31, v4
	v_sub_f16_e32 v4, v31, v4
	;; [unrolled: 2-line block ×8, first 2 shown]
	v_sub_f16_e32 v2, v58, v52
	v_sub_f16_e32 v3, v64, v62
	v_add_f16_e32 v2, v2, v3
	v_add_f16_e32 v3, v52, v62
	;; [unrolled: 1-line block ×3, first 2 shown]
	v_sub_f16_e32 v33, v33, v6
	v_fma_f16 v3, v3, -0.5, v25
	v_sub_f16_e32 v6, v41, v35
	v_add_f16_e32 v57, v48, v30
	v_sub_f16_e32 v48, v48, v30
	v_fma_f16 v7, v6, s6, v3
	v_sub_f16_e32 v30, v38, v61
	v_fma_f16 v3, v6, s1, v3
	v_fma_f16 v7, v30, s5, v7
	v_fma_f16 v3, v30, s4, v3
	v_fma_f16 v7, v2, s0, v7
	v_fma_f16 v2, v2, s0, v3
	v_sub_f16_e32 v3, v52, v58
	v_sub_f16_e32 v60, v62, v64
	v_add_f16_e32 v3, v3, v60
	v_add_f16_e32 v60, v58, v64
	v_fma_f16 v60, v60, -0.5, v25
	v_fma_f16 v63, v30, s1, v60
	v_fma_f16 v30, v30, s6, v60
	;; [unrolled: 1-line block ×6, first 2 shown]
	v_sub_f16_e32 v6, v1, v54
	v_sub_f16_e32 v60, v8, v5
	v_add_f16_e32 v6, v6, v60
	v_add_f16_e32 v60, v54, v5
	v_fma_f16 v60, v60, -0.5, v59
	v_sub_f16_e32 v63, v39, v46
	v_fma_f16 v65, v63, s6, v60
	v_sub_f16_e32 v66, v34, v56
	v_fma_f16 v60, v63, s1, v60
	v_fma_f16 v65, v66, s5, v65
	;; [unrolled: 1-line block ×5, first 2 shown]
	v_sub_f16_e32 v6, v54, v1
	v_sub_f16_e32 v67, v5, v8
	v_add_f16_e32 v6, v6, v67
	v_add_f16_e32 v67, v1, v8
	v_fma_f16 v67, v67, -0.5, v59
	v_fma_f16 v68, v66, s1, v67
	v_fma_f16 v66, v66, s6, v67
	;; [unrolled: 1-line block ×6, first 2 shown]
	v_add_f16_e32 v6, v59, v1
	v_add_f16_e32 v6, v6, v54
	;; [unrolled: 1-line block ×4, first 2 shown]
	v_sub_f16_e32 v1, v1, v8
	v_sub_f16_e32 v5, v54, v5
	;; [unrolled: 1-line block ×4, first 2 shown]
	v_add_f16_e32 v8, v8, v54
	v_add_f16_e32 v54, v34, v56
	v_fma_f16 v54, v54, -0.5, v40
	v_fma_f16 v59, v1, s1, v54
	v_fma_f16 v54, v1, s6, v54
	;; [unrolled: 1-line block ×6, first 2 shown]
	v_sub_f16_e32 v8, v34, v39
	v_sub_f16_e32 v67, v56, v46
	v_add_f16_e32 v8, v8, v67
	v_add_f16_e32 v67, v39, v46
	v_fma_f16 v67, v67, -0.5, v40
	v_fma_f16 v68, v5, s6, v67
	v_fma_f16 v5, v5, s1, v67
	;; [unrolled: 1-line block ×5, first 2 shown]
	v_add_f16_e32 v1, v25, v58
	v_add_f16_e32 v1, v1, v52
	;; [unrolled: 1-line block ×5, first 2 shown]
	v_sub_f16_e32 v1, v1, v6
	v_mul_f16_e32 v6, 0x38b4, v59
	v_fma_f16 v67, v8, s0, v67
	v_fma_f16 v6, v65, s7, v6
	v_add_f16_e32 v8, v7, v6
	v_sub_f16_e32 v6, v7, v6
	v_mul_f16_e32 v7, 0x3b9c, v67
	v_fma_f16 v7, v66, s0, v7
	v_add_f16_e32 v25, v30, v7
	v_sub_f16_e32 v7, v30, v7
	v_mul_f16_e32 v30, 0x34f2, v63
	v_fma_f16 v30, v68, s6, -v30
	v_add_f16_e32 v69, v3, v30
	v_sub_f16_e32 v3, v3, v30
	v_mul_f16_e32 v30, 0x3a79, v60
	v_fma_f16 v30, v54, s5, -v30
	v_add_f16_e32 v70, v2, v30
	v_sub_f16_e32 v2, v2, v30
	v_lshrrev_b32_e32 v30, 6, v0
	v_mul_u32_u24_e32 v30, 0x280, v30
	v_or_b32_e32 v30, v30, v26
	v_lshl_add_u32 v71, v30, 1, 0
	s_barrier
	ds_write_b16 v71, v37
	ds_write_b16 v71, v47 offset:128
	ds_write_b16 v71, v31 offset:256
	;; [unrolled: 1-line block ×6, first 2 shown]
	v_lshrrev_b32_e32 v4, 6, v12
	v_mul_lo_u32 v4, v4, s10
	ds_write_b16 v71, v32 offset:896
	ds_write_b16 v71, v29 offset:1024
	;; [unrolled: 1-line block ×3, first 2 shown]
	v_sub_f16_e32 v37, v52, v62
	v_add_f16_e32 v45, v50, v41
	v_or_b32_e32 v4, v4, v26
	v_lshl_add_u32 v36, v4, 1, 0
	ds_write_b16 v36, v5
	ds_write_b16 v36, v8 offset:128
	ds_write_b16 v36, v25 offset:256
	;; [unrolled: 1-line block ×9, first 2 shown]
	s_waitcnt lgkmcnt(0)
	s_barrier
	ds_read_u16 v5, v23
	ds_read_u16 v22, v22
	;; [unrolled: 1-line block ×5, first 2 shown]
	ds_read_u16 v2, v17 offset:1280
	ds_read_u16 v6, v17 offset:1536
	;; [unrolled: 1-line block ×15, first 2 shown]
	s_waitcnt lgkmcnt(0)
	s_barrier
	ds_write_b16 v71, v42
	ds_write_b16 v71, v44 offset:128
	ds_write_b16 v71, v51 offset:256
	;; [unrolled: 1-line block ×9, first 2 shown]
	v_sub_f16_e32 v42, v41, v38
	v_sub_f16_e32 v43, v35, v61
	v_add_f16_e32 v42, v42, v43
	v_add_f16_e32 v43, v38, v61
	v_sub_f16_e32 v33, v58, v64
	v_fma_f16 v43, v43, -0.5, v50
	v_fma_f16 v44, v33, s1, v43
	v_fma_f16 v43, v33, s6, v43
	;; [unrolled: 1-line block ×4, first 2 shown]
	v_add_f16_e32 v45, v45, v38
	v_fma_f16 v44, v42, s0, v44
	v_fma_f16 v42, v42, s0, v43
	v_add_f16_e32 v43, v41, v35
	v_sub_f16_e32 v38, v38, v41
	v_add_f16_e32 v41, v45, v61
	v_fma_f16 v43, v43, -0.5, v50
	v_add_f16_e32 v41, v41, v35
	v_sub_f16_e32 v35, v61, v35
	v_add_f16_e32 v35, v38, v35
	v_fma_f16 v38, v37, s6, v43
	v_fma_f16 v37, v37, s1, v43
	;; [unrolled: 1-line block ×6, first 2 shown]
	v_add_f16_e32 v35, v40, v39
	v_add_f16_e32 v34, v35, v34
	;; [unrolled: 1-line block ×4, first 2 shown]
	v_mul_f16_e32 v35, 0xb8b4, v65
	v_mul_f16_e32 v38, 0xbb9c, v66
	;; [unrolled: 1-line block ×4, first 2 shown]
	v_fma_f16 v35, v59, s7, v35
	v_fma_f16 v38, v67, s0, v38
	v_fma_f16 v39, v63, s1, -v39
	v_fma_f16 v40, v60, s4, -v40
	v_add_f16_e32 v43, v41, v34
	v_sub_f16_e32 v34, v41, v34
	v_add_f16_e32 v41, v44, v35
	v_sub_f16_e32 v35, v44, v35
	;; [unrolled: 2-line block ×5, first 2 shown]
	ds_write_b16 v36, v43
	ds_write_b16 v36, v41 offset:128
	ds_write_b16 v36, v44 offset:256
	;; [unrolled: 1-line block ×9, first 2 shown]
	s_waitcnt lgkmcnt(0)
	s_barrier
	s_and_saveexec_b64 s[0:1], vcc
	s_cbranch_execz .LBB0_15
; %bb.14:
	v_mul_i32_i24_e32 v42, 3, v16
	v_mov_b32_e32 v43, 0
	v_lshlrev_b64 v[33:34], 2, v[42:43]
	v_mul_i32_i24_e32 v42, 3, v15
	v_mov_b32_e32 v44, s9
	v_add_co_u32_e32 v33, vcc, s8, v33
	v_lshlrev_b64 v[36:37], 2, v[42:43]
	v_addc_co_u32_e32 v34, vcc, v44, v34, vcc
	v_add_co_u32_e32 v36, vcc, s8, v36
	global_load_dwordx3 v[33:35], v[33:34], off offset:2544
	v_addc_co_u32_e32 v37, vcc, v44, v37, vcc
	global_load_dwordx3 v[36:38], v[36:37], off offset:2544
	v_mul_i32_i24_e32 v42, 3, v13
	v_mul_i32_i24_e32 v47, -6, v15
	v_mul_i32_i24_e32 v48, -6, v16
	v_lshlrev_b64 v[15:16], 2, v[42:43]
	v_mul_i32_i24_e32 v45, -6, v12
	v_add_co_u32_e32 v15, vcc, s8, v15
	v_mul_i32_i24_e32 v46, -6, v13
	v_addc_co_u32_e32 v16, vcc, v44, v16, vcc
	v_add_u32_e32 v13, v20, v48
	v_mul_i32_i24_e32 v42, 3, v12
	v_add_u32_e32 v19, v19, v47
	v_add_u32_e32 v14, v14, v45
	ds_read_u16 v49, v17 offset:4864
	ds_read_u16 v50, v17 offset:4608
	;; [unrolled: 1-line block ×10, first 2 shown]
	global_load_dwordx3 v[39:41], v[15:16], off offset:2544
	ds_read_u16 v15, v13
	ds_read_u16 v62, v17 offset:1792
	ds_read_u16 v19, v19
	ds_read_u16 v14, v14
	v_lshlrev_b64 v[12:13], 2, v[42:43]
	ds_read_u16 v48, v17 offset:2048
	v_add_co_u32_e32 v12, vcc, s8, v12
	v_addc_co_u32_e32 v13, vcc, v44, v13, vcc
	global_load_dwordx3 v[42:44], v[12:13], off offset:2544
	ds_read_u16 v12, v17 offset:2304
	v_add_u32_e32 v18, v18, v46
	ds_read_u16 v18, v18
	v_add_co_u32_e32 v9, vcc, s2, v9
	s_movk_i32 s0, 0x1000
	s_waitcnt vmcnt(3)
	v_lshrrev_b32_e32 v13, 16, v33
	v_lshrrev_b32_e32 v20, 16, v35
	s_waitcnt lgkmcnt(1)
	v_mul_f16_e32 v59, v33, v12
	v_mul_f16_e32 v60, v35, v49
	v_fma_f16 v59, v30, v13, v59
	v_mul_f16_e32 v12, v13, v12
	v_mul_f16_e32 v13, v20, v49
	s_waitcnt vmcnt(2)
	v_lshrrev_b32_e32 v49, 16, v37
	v_fma_f16 v12, v30, v33, -v12
	v_mul_f16_e32 v30, v49, v55
	v_fma_f16 v30, v27, v37, -v30
	v_mul_f16_e32 v37, v37, v55
	v_lshrrev_b32_e32 v16, 16, v34
	v_mul_f16_e32 v61, v34, v54
	v_fma_f16 v60, v31, v20, v60
	v_lshrrev_b32_e32 v20, 16, v36
	v_fma_f16 v27, v27, v49, v37
	ds_read_u16 v49, v17 offset:1536
	v_mul_f16_e32 v63, v36, v48
	v_mul_f16_e32 v54, v16, v54
	v_fma_f16 v16, v32, v16, v61
	v_lshrrev_b32_e32 v61, 16, v38
	v_fma_f16 v13, v31, v35, -v13
	v_fma_f16 v31, v26, v20, v63
	v_mul_f16_e32 v20, v20, v48
	v_fma_f16 v20, v26, v36, -v20
	v_mul_f16_e32 v26, v61, v50
	v_fma_f16 v36, v28, v38, -v26
	v_mul_u32_u24_e32 v26, 3, v0
	v_mul_f16_e32 v64, v38, v50
	v_lshlrev_b32_e32 v26, 2, v26
	v_fma_f16 v33, v28, v61, v64
	v_sub_f16_e32 v37, v19, v27
	global_load_dwordx3 v[26:28], v26, s[8:9] offset:2544
	v_fma_f16 v32, v32, v34, -v54
	v_sub_f16_e32 v34, v59, v60
	v_sub_f16_e32 v16, v15, v16
	;; [unrolled: 1-line block ×3, first 2 shown]
	v_fma_f16 v15, v15, 2.0, -v16
	v_fma_f16 v35, v59, 2.0, -v34
	v_sub_f16_e32 v33, v31, v33
	v_sub_f16_e32 v30, v25, v30
	v_add_f16_e32 v54, v16, v13
	v_fma_f16 v12, v12, 2.0, -v13
	v_sub_f16_e32 v13, v15, v35
	v_sub_f16_e32 v35, v30, v33
	;; [unrolled: 1-line block ×3, first 2 shown]
	v_fma_f16 v47, v30, 2.0, -v35
	v_add_f16_e32 v38, v37, v36
	v_fma_f16 v25, v25, 2.0, -v30
	v_fma_f16 v30, v31, 2.0, -v33
	s_waitcnt vmcnt(2)
	v_lshrrev_b32_e32 v31, 16, v39
	v_lshrrev_b32_e32 v33, 16, v40
	v_mul_f16_e32 v50, v39, v62
	v_fma_f16 v48, v37, 2.0, -v38
	v_fma_f16 v20, v20, 2.0, -v36
	;; [unrolled: 1-line block ×3, first 2 shown]
	v_lshrrev_b32_e32 v36, 16, v41
	v_mul_f16_e32 v37, v33, v56
	v_fma_f16 v50, v21, v31, v50
	v_mul_f16_e32 v31, v31, v62
	v_fma_f16 v37, v23, v40, -v37
	v_mul_f16_e32 v55, v41, v51
	v_mul_f16_e32 v40, v40, v56
	v_fma_f16 v21, v21, v39, -v31
	v_mul_f16_e32 v31, v36, v51
	v_fma_f16 v55, v24, v36, v55
	v_fma_f16 v23, v23, v33, v40
	ds_read_u16 v40, v17 offset:1280
	v_fma_f16 v24, v24, v41, -v31
	v_sub_f16_e32 v37, v22, v37
	v_sub_f16_e32 v55, v50, v55
	;; [unrolled: 1-line block ×3, first 2 shown]
	ds_read_u16 v17, v17
	s_waitcnt lgkmcnt(3)
	v_sub_f16_e32 v23, v18, v23
	v_sub_f16_e32 v46, v37, v55
	v_add_f16_e32 v31, v23, v24
	v_fma_f16 v21, v21, 2.0, -v24
	s_waitcnt vmcnt(1)
	v_lshrrev_b32_e32 v24, 16, v42
	v_lshrrev_b32_e32 v36, 16, v43
	s_waitcnt lgkmcnt(2)
	v_mul_f16_e32 v41, v42, v49
	v_fma_f16 v59, v37, 2.0, -v46
	v_fma_f16 v22, v22, 2.0, -v37
	v_lshrrev_b32_e32 v37, 16, v44
	v_mul_f16_e32 v39, v36, v57
	v_fma_f16 v41, v6, v24, v41
	v_mul_f16_e32 v24, v24, v49
	v_fma_f16 v33, v23, 2.0, -v31
	v_fma_f16 v18, v18, 2.0, -v23
	;; [unrolled: 1-line block ×3, first 2 shown]
	v_fma_f16 v39, v7, v43, -v39
	v_mul_f16_e32 v50, v44, v52
	v_mul_f16_e32 v43, v43, v57
	v_fma_f16 v6, v6, v42, -v24
	v_mul_f16_e32 v24, v37, v52
	v_fma_f16 v50, v8, v37, v50
	v_fma_f16 v7, v7, v36, v43
	v_fma_f16 v8, v8, v44, -v24
	v_sub_f16_e32 v7, v14, v7
	v_sub_f16_e32 v8, v6, v8
	;; [unrolled: 1-line block ×4, first 2 shown]
	v_add_f16_e32 v24, v7, v8
	v_sub_f16_e32 v45, v39, v50
	v_fma_f16 v36, v7, 2.0, -v24
	v_fma_f16 v7, v14, 2.0, -v7
	v_fma_f16 v51, v39, 2.0, -v45
	v_fma_f16 v5, v5, 2.0, -v39
	v_fma_f16 v6, v6, 2.0, -v8
	v_fma_f16 v8, v41, 2.0, -v50
	v_sub_f16_e32 v6, v5, v6
	v_sub_f16_e32 v8, v7, v8
	v_fma_f16 v5, v5, 2.0, -v6
	s_waitcnt vmcnt(0)
	v_lshrrev_b32_e32 v14, 16, v26
	s_waitcnt lgkmcnt(1)
	v_mul_f16_e32 v42, v26, v40
	v_lshrrev_b32_e32 v37, 16, v27
	v_lshrrev_b32_e32 v39, 16, v28
	v_fma_f16 v42, v2, v14, v42
	v_mul_f16_e32 v14, v14, v40
	v_mul_f16_e32 v41, v37, v58
	;; [unrolled: 1-line block ×3, first 2 shown]
	v_fma_f16 v2, v2, v26, -v14
	v_mul_f16_e32 v14, v39, v53
	v_fma_f16 v41, v3, v27, -v41
	v_fma_f16 v43, v4, v39, v43
	v_mul_f16_e32 v27, v27, v58
	v_fma_f16 v4, v4, v28, -v14
	v_sub_f16_e32 v41, v1, v41
	v_fma_f16 v3, v3, v37, v27
	v_sub_f16_e32 v4, v2, v4
	s_waitcnt lgkmcnt(0)
	v_sub_f16_e32 v3, v17, v3
	v_fma_f16 v1, v1, 2.0, -v41
	v_fma_f16 v2, v2, 2.0, -v4
	v_sub_f16_e32 v43, v42, v43
	v_add_f16_e32 v14, v3, v4
	v_sub_f16_e32 v4, v1, v2
	v_fma_f16 v26, v3, 2.0, -v14
	v_fma_f16 v2, v17, 2.0, -v3
	;; [unrolled: 1-line block ×4, first 2 shown]
	v_mov_b32_e32 v1, s3
	v_sub_f16_e32 v3, v2, v3
	v_addc_co_u32_e32 v10, vcc, v1, v10, vcc
	v_sub_f16_e32 v44, v41, v43
	v_fma_f16 v27, v2, 2.0, -v3
	v_add_co_u32_e32 v1, vcc, v9, v11
	v_fma_f16 v49, v41, 2.0, -v44
	v_addc_co_u32_e32 v2, vcc, 0, v10, vcc
	v_pack_b32_f16 v17, v17, v27
	global_store_dword v[1:2], v17, off
	v_pack_b32_f16 v17, v49, v26
	global_store_dword v[1:2], v17, off offset:2560
	v_pack_b32_f16 v17, v4, v3
	v_add_co_u32_e32 v3, vcc, s0, v1
	v_fma_f16 v7, v7, 2.0, -v8
	v_addc_co_u32_e32 v4, vcc, 0, v2, vcc
	v_pack_b32_f16 v14, v44, v14
	global_store_dword v[3:4], v17, off offset:1024
	global_store_dword v[3:4], v14, off offset:3584
	v_pack_b32_f16 v3, v5, v7
	global_store_dword v[1:2], v3, off offset:512
	v_pack_b32_f16 v3, v51, v36
	global_store_dword v[1:2], v3, off offset:3072
	v_or_b32_e32 v3, 0x1600, v11
	v_add_co_u32_e32 v3, vcc, v9, v3
	v_addc_co_u32_e32 v4, vcc, 0, v10, vcc
	v_pack_b32_f16 v5, v6, v8
	global_store_dword v[3:4], v5, off
	v_or_b32_e32 v3, 0x2000, v11
	v_sub_f16_e32 v21, v22, v21
	v_sub_f16_e32 v23, v18, v23
	v_add_co_u32_e32 v3, vcc, v9, v3
	v_fma_f16 v22, v22, 2.0, -v21
	v_fma_f16 v18, v18, 2.0, -v23
	v_addc_co_u32_e32 v4, vcc, 0, v10, vcc
	v_pack_b32_f16 v5, v45, v24
	global_store_dword v[3:4], v5, off
	v_pack_b32_f16 v3, v22, v18
	global_store_dword v[1:2], v3, off offset:1024
	v_mov_b32_e32 v3, 0xe00
	v_lshl_or_b32 v0, v0, 2, v3
	v_add_co_u32_e32 v3, vcc, v9, v0
	v_addc_co_u32_e32 v4, vcc, 0, v10, vcc
	v_pack_b32_f16 v0, v59, v33
	global_store_dword v[3:4], v0, off
	v_or_b32_e32 v0, 0x1800, v11
	v_add_co_u32_e32 v3, vcc, v9, v0
	v_addc_co_u32_e32 v4, vcc, 0, v10, vcc
	v_pack_b32_f16 v0, v21, v23
	global_store_dword v[3:4], v0, off
	v_or_b32_e32 v0, 0x2200, v11
	v_sub_f16_e32 v20, v25, v20
	v_sub_f16_e32 v30, v19, v30
	v_add_co_u32_e32 v3, vcc, v9, v0
	v_fma_f16 v25, v25, 2.0, -v20
	v_fma_f16 v19, v19, 2.0, -v30
	v_addc_co_u32_e32 v4, vcc, 0, v10, vcc
	v_pack_b32_f16 v0, v46, v31
	global_store_dword v[3:4], v0, off
	v_pack_b32_f16 v0, v25, v19
	global_store_dword v[1:2], v0, off offset:1536
	v_or_b32_e32 v0, 0x1000, v11
	v_add_co_u32_e32 v3, vcc, v9, v0
	v_addc_co_u32_e32 v4, vcc, 0, v10, vcc
	v_pack_b32_f16 v0, v47, v48
	global_store_dword v[3:4], v0, off
	v_or_b32_e32 v0, 0x1a00, v11
	v_add_co_u32_e32 v3, vcc, v9, v0
	v_sub_f16_e32 v32, v29, v32
	v_addc_co_u32_e32 v4, vcc, 0, v10, vcc
	v_pack_b32_f16 v0, v20, v30
	v_fma_f16 v29, v29, 2.0, -v32
	global_store_dword v[3:4], v0, off
	v_or_b32_e32 v0, 0x2400, v11
	v_sub_f16_e32 v12, v29, v12
	v_add_co_u32_e32 v3, vcc, v9, v0
	v_fma_f16 v15, v15, 2.0, -v13
	v_fma_f16 v29, v29, 2.0, -v12
	v_addc_co_u32_e32 v4, vcc, 0, v10, vcc
	v_pack_b32_f16 v0, v35, v38
	global_store_dword v[3:4], v0, off
	v_pack_b32_f16 v0, v29, v15
	v_sub_f16_e32 v34, v32, v34
	global_store_dword v[1:2], v0, off offset:2048
	v_or_b32_e32 v0, 0x1200, v11
	v_fma_f16 v32, v32, 2.0, -v34
	v_fma_f16 v16, v16, 2.0, -v54
	v_add_co_u32_e32 v0, vcc, v9, v0
	v_addc_co_u32_e32 v1, vcc, 0, v10, vcc
	v_pack_b32_f16 v2, v32, v16
	global_store_dword v[0:1], v2, off
	v_or_b32_e32 v0, 0x1c00, v11
	v_add_co_u32_e32 v0, vcc, v9, v0
	v_addc_co_u32_e32 v1, vcc, 0, v10, vcc
	v_pack_b32_f16 v2, v12, v13
	global_store_dword v[0:1], v2, off
	v_or_b32_e32 v0, 0x2600, v11
	v_add_co_u32_e32 v0, vcc, v9, v0
	v_addc_co_u32_e32 v1, vcc, 0, v10, vcc
	v_pack_b32_f16 v2, v34, v54
	global_store_dword v[0:1], v2, off
.LBB0_15:
	s_endpgm
	.section	.rodata,"a",@progbits
	.p2align	6, 0x0
	.amdhsa_kernel fft_rtc_fwd_len2560_factors_4_4_4_10_4_wgs_128_tpt_128_halfLds_half_ip_CI_unitstride_sbrr_dirReg
		.amdhsa_group_segment_fixed_size 0
		.amdhsa_private_segment_fixed_size 0
		.amdhsa_kernarg_size 88
		.amdhsa_user_sgpr_count 6
		.amdhsa_user_sgpr_private_segment_buffer 1
		.amdhsa_user_sgpr_dispatch_ptr 0
		.amdhsa_user_sgpr_queue_ptr 0
		.amdhsa_user_sgpr_kernarg_segment_ptr 1
		.amdhsa_user_sgpr_dispatch_id 0
		.amdhsa_user_sgpr_flat_scratch_init 0
		.amdhsa_user_sgpr_private_segment_size 0
		.amdhsa_uses_dynamic_stack 0
		.amdhsa_system_sgpr_private_segment_wavefront_offset 0
		.amdhsa_system_sgpr_workgroup_id_x 1
		.amdhsa_system_sgpr_workgroup_id_y 0
		.amdhsa_system_sgpr_workgroup_id_z 0
		.amdhsa_system_sgpr_workgroup_info 0
		.amdhsa_system_vgpr_workitem_id 0
		.amdhsa_next_free_vgpr 72
		.amdhsa_next_free_sgpr 22
		.amdhsa_reserve_vcc 1
		.amdhsa_reserve_flat_scratch 0
		.amdhsa_float_round_mode_32 0
		.amdhsa_float_round_mode_16_64 0
		.amdhsa_float_denorm_mode_32 3
		.amdhsa_float_denorm_mode_16_64 3
		.amdhsa_dx10_clamp 1
		.amdhsa_ieee_mode 1
		.amdhsa_fp16_overflow 0
		.amdhsa_exception_fp_ieee_invalid_op 0
		.amdhsa_exception_fp_denorm_src 0
		.amdhsa_exception_fp_ieee_div_zero 0
		.amdhsa_exception_fp_ieee_overflow 0
		.amdhsa_exception_fp_ieee_underflow 0
		.amdhsa_exception_fp_ieee_inexact 0
		.amdhsa_exception_int_div_zero 0
	.end_amdhsa_kernel
	.text
.Lfunc_end0:
	.size	fft_rtc_fwd_len2560_factors_4_4_4_10_4_wgs_128_tpt_128_halfLds_half_ip_CI_unitstride_sbrr_dirReg, .Lfunc_end0-fft_rtc_fwd_len2560_factors_4_4_4_10_4_wgs_128_tpt_128_halfLds_half_ip_CI_unitstride_sbrr_dirReg
                                        ; -- End function
	.section	.AMDGPU.csdata,"",@progbits
; Kernel info:
; codeLenInByte = 11396
; NumSgprs: 26
; NumVgprs: 72
; ScratchSize: 0
; MemoryBound: 0
; FloatMode: 240
; IeeeMode: 1
; LDSByteSize: 0 bytes/workgroup (compile time only)
; SGPRBlocks: 3
; VGPRBlocks: 17
; NumSGPRsForWavesPerEU: 26
; NumVGPRsForWavesPerEU: 72
; Occupancy: 3
; WaveLimiterHint : 1
; COMPUTE_PGM_RSRC2:SCRATCH_EN: 0
; COMPUTE_PGM_RSRC2:USER_SGPR: 6
; COMPUTE_PGM_RSRC2:TRAP_HANDLER: 0
; COMPUTE_PGM_RSRC2:TGID_X_EN: 1
; COMPUTE_PGM_RSRC2:TGID_Y_EN: 0
; COMPUTE_PGM_RSRC2:TGID_Z_EN: 0
; COMPUTE_PGM_RSRC2:TIDIG_COMP_CNT: 0
	.type	__hip_cuid_6d716c04b66be208,@object ; @__hip_cuid_6d716c04b66be208
	.section	.bss,"aw",@nobits
	.globl	__hip_cuid_6d716c04b66be208
__hip_cuid_6d716c04b66be208:
	.byte	0                               ; 0x0
	.size	__hip_cuid_6d716c04b66be208, 1

	.ident	"AMD clang version 19.0.0git (https://github.com/RadeonOpenCompute/llvm-project roc-6.4.0 25133 c7fe45cf4b819c5991fe208aaa96edf142730f1d)"
	.section	".note.GNU-stack","",@progbits
	.addrsig
	.addrsig_sym __hip_cuid_6d716c04b66be208
	.amdgpu_metadata
---
amdhsa.kernels:
  - .args:
      - .actual_access:  read_only
        .address_space:  global
        .offset:         0
        .size:           8
        .value_kind:     global_buffer
      - .offset:         8
        .size:           8
        .value_kind:     by_value
      - .actual_access:  read_only
        .address_space:  global
        .offset:         16
        .size:           8
        .value_kind:     global_buffer
      - .actual_access:  read_only
        .address_space:  global
        .offset:         24
        .size:           8
        .value_kind:     global_buffer
      - .offset:         32
        .size:           8
        .value_kind:     by_value
      - .actual_access:  read_only
        .address_space:  global
        .offset:         40
        .size:           8
        .value_kind:     global_buffer
      - .actual_access:  read_only
        .address_space:  global
        .offset:         48
        .size:           8
        .value_kind:     global_buffer
      - .offset:         56
        .size:           4
        .value_kind:     by_value
      - .actual_access:  read_only
        .address_space:  global
        .offset:         64
        .size:           8
        .value_kind:     global_buffer
      - .actual_access:  read_only
        .address_space:  global
        .offset:         72
        .size:           8
        .value_kind:     global_buffer
      - .address_space:  global
        .offset:         80
        .size:           8
        .value_kind:     global_buffer
    .group_segment_fixed_size: 0
    .kernarg_segment_align: 8
    .kernarg_segment_size: 88
    .language:       OpenCL C
    .language_version:
      - 2
      - 0
    .max_flat_workgroup_size: 128
    .name:           fft_rtc_fwd_len2560_factors_4_4_4_10_4_wgs_128_tpt_128_halfLds_half_ip_CI_unitstride_sbrr_dirReg
    .private_segment_fixed_size: 0
    .sgpr_count:     26
    .sgpr_spill_count: 0
    .symbol:         fft_rtc_fwd_len2560_factors_4_4_4_10_4_wgs_128_tpt_128_halfLds_half_ip_CI_unitstride_sbrr_dirReg.kd
    .uniform_work_group_size: 1
    .uses_dynamic_stack: false
    .vgpr_count:     72
    .vgpr_spill_count: 0
    .wavefront_size: 64
amdhsa.target:   amdgcn-amd-amdhsa--gfx906
amdhsa.version:
  - 1
  - 2
...

	.end_amdgpu_metadata
